;; amdgpu-corpus repo=ROCm/aiter kind=harvested arch=n/a opt=n/a

/root/src/amdgpu-assembly/repos/ROCm__aiter/hsa/gfx942/fmoe_2stages/fmoe_stage1_bf16_pertokenFp8_doweight_g1u1_80x128_pf2.co:	file format elf64-amdgpu

Disassembly of section .text:

0000000000002a00 <_ZN5aiter53fmoe_stage1_bf16_pertokenFp8_doweight_g1u1_80x128_pf2E>:
	s_and_b32 s1, s1, 0xffff                                   // 000000002A00: 8601FF01 0000FFFF
	s_load_dwordx2 s[8:9], s[0:1], 0x0                         // 000000002A08: C0060200 00000000
	s_load_dwordx2 s[20:21], s[0:1], 0x10                      // 000000002A10: C0060500 00000010
	s_load_dwordx2 s[24:25], s[0:1], 0x20                      // 000000002A18: C0060600 00000020
	s_load_dwordx2 s[48:49], s[0:1], 0x30                      // 000000002A20: C0060C00 00000030
	s_load_dwordx2 s[28:29], s[0:1], 0x40                      // 000000002A28: C0060700 00000040
	s_load_dwordx2 s[32:33], s[0:1], 0x50                      // 000000002A30: C0060800 00000050
	s_load_dwordx2 s[36:37], s[0:1], 0x60                      // 000000002A38: C0060900 00000060
	s_load_dwordx2 s[12:13], s[0:1], 0x70                      // 000000002A40: C0060300 00000070
	s_load_dwordx2 s[44:45], s[0:1], 0x80                      // 000000002A48: C0060B00 00000080
	s_mov_b32 s89, 0                                           // 000000002A50: BED90080
	s_load_dword s64, s[0:1], 0x90                             // 000000002A54: C0021000 00000090
	s_load_dword s65, s[0:1], 0xa0                             // 000000002A5C: C0021040 000000A0
	s_load_dword s66, s[0:1], 0xb0                             // 000000002A64: C0021080 000000B0
	s_load_dword s67, s[0:1], 0xc0                             // 000000002A6C: C00210C0 000000C0
	s_load_dword s68, s[0:1], 0xd0                             // 000000002A74: C0021100 000000D0
	s_load_dword s69, s[0:1], 0xe0                             // 000000002A7C: C0021140 000000E0
	s_load_dword s71, s[0:1], 0xf0                             // 000000002A84: C00211C0 000000F0
	s_load_dword s72, s[0:1], 0x100                            // 000000002A8C: C0021200 00000100
	s_load_dword s74, s[0:1], 0x110                            // 000000002A94: C0021280 00000110
	s_load_dword s76, s[0:1], 0x120                            // 000000002A9C: C0021300 00000120
	s_load_dword s56, s[0:1], 0x130                            // 000000002AA4: C0020E00 00000130
	s_load_dword s88, s[0:1], 0x140                            // 000000002AAC: C0021600 00000140
	s_load_dword s89, s[0:1], 0x150                            // 000000002AB4: C0021640 00000150
	s_load_dwordx2 s[40:41], s[0:1], 0x160                     // 000000002ABC: C0060A00 00000160
	v_lshrrev_b32_e32 v1, 10, v0                               // 000000002AC4: 2002008A
	v_lshrrev_b32_e32 v2, 10, v1                               // 000000002AC8: 2004028A
	v_and_b32_e32 v2, 0x3ff, v2                                // 000000002ACC: 260404FF 000003FF
	v_and_b32_e32 v1, 0x3ff, v1                                // 000000002AD4: 260202FF 000003FF
	v_and_b32_e32 v0, 0x3ff, v0                                // 000000002ADC: 260000FF 000003FF
	v_lshrrev_b32_e32 v3, 6, v0                                // 000000002AE4: 20060086
	v_and_b32_e32 v0, 63, v0                                   // 000000002AE8: 260000BF
	s_mov_b32 s2, s2                                           // 000000002AEC: BE820002
	s_mov_b32 s3, s3                                           // 000000002AF0: BE830003
	s_mov_b32 s4, s4                                           // 000000002AF4: BE840004
	v_readfirstlane_b32 s7, v3                                 // 000000002AF8: 7E0E0503
	s_waitcnt lgkmcnt(0)                                       // 000000002AFC: BF8CC07F
	s_and_b32 s49, s49, 0xffff                                 // 000000002B00: 8631FF31 0000FFFF
	s_load_dword s48, s[48:49], 0x0                            // 000000002B08: C0020C18 00000000
	s_and_b32 s45, s45, 0xffff                                 // 000000002B10: 862DFF2D 0000FFFF
	s_and_b32 s9, s9, 0xffff                                   // 000000002B18: 8609FF09 0000FFFF
	s_mul_i32 s60, s66, s68                                    // 000000002B20: 923C4442
	s_mul_i32 s61, s66, 4                                      // 000000002B24: 923D8442
	s_mov_b32 s22, s60                                         // 000000002B28: BE96003C
	s_mov_b32 s26, -16                                         // 000000002B2C: BE9A00D0
	s_mov_b32 s30, s61                                         // 000000002B30: BE9E003D
	s_mov_b32 s14, 0x140                                       // 000000002B34: BE8E00FF 00000140
	s_mov_b32 s38, -16                                         // 000000002B3C: BEA600D0
	s_mov_b32 s10, -16                                         // 000000002B40: BE8A00D0
	s_mov_b32 s34, 0x200                                       // 000000002B44: BEA200FF 00000200
	s_mov_b32 s23, 0x20000                                     // 000000002B4C: BE9700FF 00020000
	s_mov_b32 s27, 0x20000                                     // 000000002B54: BE9B00FF 00020000
	s_mov_b32 s31, 0x20000                                     // 000000002B5C: BE9F00FF 00020000
	s_mov_b32 s35, 0x20000                                     // 000000002B64: BEA300FF 00020000
	s_mov_b32 s15, 0x20000                                     // 000000002B6C: BE8F00FF 00020000
	s_mov_b32 s39, 0x20000                                     // 000000002B74: BEA700FF 00020000
	s_mov_b32 s11, 0x20000                                     // 000000002B7C: BE8B00FF 00020000
	s_and_b32 s21, s21, 0xffff                                 // 000000002B84: 8615FF15 0000FFFF
	s_and_b32 s25, s25, 0xffff                                 // 000000002B8C: 8619FF19 0000FFFF
	s_and_b32 s29, s29, 0xffff                                 // 000000002B94: 861DFF1D 0000FFFF
	s_and_b32 s33, s33, 0xffff                                 // 000000002B9C: 8621FF21 0000FFFF
	s_and_b32 s13, s13, 0xffff                                 // 000000002BA4: 860DFF0D 0000FFFF
	s_and_b32 s37, s37, 0xffff                                 // 000000002BAC: 8625FF25 0000FFFF
	s_or_b32 s21, s21, 0x40000                                 // 000000002BB4: 8715FF15 00040000
	s_or_b32 s25, s25, 0x40000                                 // 000000002BBC: 8719FF19 00040000
	s_or_b32 s29, s29, 0x40000                                 // 000000002BC4: 871DFF1D 00040000
	s_or_b32 s33, s33, 0x40000                                 // 000000002BCC: 8721FF21 00040000
	s_or_b32 s13, s13, 0x40000                                 // 000000002BD4: 870DFF0D 00040000
	s_or_b32 s37, s37, 0x40000                                 // 000000002BDC: 8725FF25 00040000
	s_mov_b32 s42, -16                                         // 000000002BE4: BEAA00D0
	s_mov_b32 s43, 0x20000                                     // 000000002BE8: BEAB00FF 00020000
	s_and_b32 s41, s41, 0xffff                                 // 000000002BF0: 8629FF29 0000FFFF
	s_or_b32 s41, s41, 0x40000                                 // 000000002BF8: 8729FF29 00040000
	v_accvgpr_write_b32 a111, 0                                // 000000002C00: D3D9406F 18000080
	v_mov_b32_e32 v144, 0                                      // 000000002C08: 7F200280
	s_waitcnt lgkmcnt(0)                                       // 000000002C0C: BF8CC07F
	s_mul_i32 s60, s3, 0x50                                    // 000000002C10: 923CFF03 00000050
	s_cmp_lt_i32 s60, s48                                      // 000000002C18: BF04303C
	s_cbranch_scc0 label_1EDA                                  // 000000002C1C: BF841E4F
	s_mov_b32 s80, 0                                           // 000000002C20: BED00080
	s_lshr_b32 s81, s64, s88                                   // 000000002C24: 8F515840
	s_mul_i32 s60, s3, 4                                       // 000000002C28: 923C8403
	s_add_u32 s44, s60, s44                                    // 000000002C2C: 802C2C3C
	s_addc_u32 s45, 0, s45                                     // 000000002C30: 822D2D80
	s_load_dword s5, s[44:45], 0x0                             // 000000002C34: C0020156 00000000
	s_mul_i32 s60, s3, 0x50                                    // 000000002C3C: 923CFF03 00000050
	s_mul_i32 s60, 4, s60                                      // 000000002C44: 923C3C84
	s_add_u32 s12, s60, s12                                    // 000000002C48: 800C0C3C
	s_addc_u32 s13, 0, s13                                     // 000000002C4C: 820D0D80
	v_and_b32_e32 v4, 15, v0                                   // 000000002C50: 2608008F
	v_lshlrev_b32_e32 v4, 2, v4                                // 000000002C54: 24080882
	buffer_load_dword v28, v4, s[12:15], 0 offen               // 000000002C58: E0501000 80031C04
	v_add_u32_e32 v4, 64, v4                                   // 000000002C60: 680808C0
	buffer_load_dword v29, v4, s[12:15], 0 offen               // 000000002C64: E0501000 80031D04
	v_add_u32_e32 v4, 64, v4                                   // 000000002C6C: 680808C0
	buffer_load_dword v30, v4, s[12:15], 0 offen               // 000000002C70: E0501000 80031E04
	v_add_u32_e32 v4, 64, v4                                   // 000000002C78: 680808C0
	buffer_load_dword v31, v4, s[12:15], 0 offen               // 000000002C7C: E0501000 80031F04
	v_add_u32_e32 v4, 64, v4                                   // 000000002C84: 680808C0
	buffer_load_dword v32, v4, s[12:15], 0 offen               // 000000002C88: E0501000 80032004
	v_add_u32_e32 v4, 64, v4                                   // 000000002C90: 680808C0
	s_mul_i32 s60, 4, s7                                       // 000000002C94: 923C0784
	v_lshlrev_b32_e32 v4, 4, v0                                // 000000002C98: 24080084
	v_add_u32_e32 v4, s60, v4                                  // 000000002C9C: 6808083C
	buffer_load_dword v3, v4, s[12:15], 0 offen                // 000000002CA0: E0501000 80030304
	v_mov_b32_e32 v60, 0                                       // 000000002CA8: 7E780280
	v_mov_b32_e32 v100, 0                                      // 000000002CAC: 7EC80280
	v_mov_b32_e32 v61, 0                                       // 000000002CB0: 7E7A0280
	v_mov_b32_e32 v101, 0                                      // 000000002CB4: 7ECA0280
	v_mov_b32_e32 v62, 0                                       // 000000002CB8: 7E7C0280
	v_mov_b32_e32 v102, 0                                      // 000000002CBC: 7ECC0280
	v_mov_b32_e32 v63, 0                                       // 000000002CC0: 7E7E0280
	v_mov_b32_e32 v103, 0                                      // 000000002CC4: 7ECE0280
	v_mov_b32_e32 v64, 0                                       // 000000002CC8: 7E800280
	v_mov_b32_e32 v104, 0                                      // 000000002CCC: 7ED00280
	v_mov_b32_e32 v65, 0                                       // 000000002CD0: 7E820280
	v_mov_b32_e32 v105, 0                                      // 000000002CD4: 7ED20280
	v_mov_b32_e32 v66, 0                                       // 000000002CD8: 7E840280
	v_mov_b32_e32 v106, 0                                      // 000000002CDC: 7ED40280
	v_mov_b32_e32 v67, 0                                       // 000000002CE0: 7E860280
	v_mov_b32_e32 v107, 0                                      // 000000002CE4: 7ED60280
	v_mov_b32_e32 v68, 0                                       // 000000002CE8: 7E880280
	v_mov_b32_e32 v108, 0                                      // 000000002CEC: 7ED80280
	v_mov_b32_e32 v69, 0                                       // 000000002CF0: 7E8A0280
	v_mov_b32_e32 v109, 0                                      // 000000002CF4: 7EDA0280
	v_mov_b32_e32 v70, 0                                       // 000000002CF8: 7E8C0280
	v_mov_b32_e32 v110, 0                                      // 000000002CFC: 7EDC0280
	v_mov_b32_e32 v71, 0                                       // 000000002D00: 7E8E0280
	v_mov_b32_e32 v111, 0                                      // 000000002D04: 7EDE0280
	v_mov_b32_e32 v72, 0                                       // 000000002D08: 7E900280
	v_mov_b32_e32 v112, 0                                      // 000000002D0C: 7EE00280
	v_mov_b32_e32 v73, 0                                       // 000000002D10: 7E920280
	v_mov_b32_e32 v113, 0                                      // 000000002D14: 7EE20280
	v_mov_b32_e32 v74, 0                                       // 000000002D18: 7E940280
	v_mov_b32_e32 v114, 0                                      // 000000002D1C: 7EE40280
	v_mov_b32_e32 v75, 0                                       // 000000002D20: 7E960280
	v_mov_b32_e32 v115, 0                                      // 000000002D24: 7EE60280
	v_mov_b32_e32 v76, 0                                       // 000000002D28: 7E980280
	v_mov_b32_e32 v116, 0                                      // 000000002D2C: 7EE80280
	v_mov_b32_e32 v77, 0                                       // 000000002D30: 7E9A0280
	v_mov_b32_e32 v117, 0                                      // 000000002D34: 7EEA0280
	v_mov_b32_e32 v78, 0                                       // 000000002D38: 7E9C0280
	v_mov_b32_e32 v118, 0                                      // 000000002D3C: 7EEC0280
	v_mov_b32_e32 v79, 0                                       // 000000002D40: 7E9E0280
	v_mov_b32_e32 v119, 0                                      // 000000002D44: 7EEE0280
	v_mov_b32_e32 v80, 0                                       // 000000002D48: 7EA00280
	v_mov_b32_e32 v120, 0                                      // 000000002D4C: 7EF00280
	v_mov_b32_e32 v81, 0                                       // 000000002D50: 7EA20280
	v_mov_b32_e32 v121, 0                                      // 000000002D54: 7EF20280
	v_mov_b32_e32 v82, 0                                       // 000000002D58: 7EA40280
	v_mov_b32_e32 v122, 0                                      // 000000002D5C: 7EF40280
	v_mov_b32_e32 v83, 0                                       // 000000002D60: 7EA60280
	v_mov_b32_e32 v123, 0                                      // 000000002D64: 7EF60280
	v_mov_b32_e32 v84, 0                                       // 000000002D68: 7EA80280
	v_mov_b32_e32 v124, 0                                      // 000000002D6C: 7EF80280
	v_mov_b32_e32 v85, 0                                       // 000000002D70: 7EAA0280
	v_mov_b32_e32 v125, 0                                      // 000000002D74: 7EFA0280
	v_mov_b32_e32 v86, 0                                       // 000000002D78: 7EAC0280
	v_mov_b32_e32 v126, 0                                      // 000000002D7C: 7EFC0280
	v_mov_b32_e32 v87, 0                                       // 000000002D80: 7EAE0280
	v_mov_b32_e32 v127, 0                                      // 000000002D84: 7EFE0280
	v_mov_b32_e32 v88, 0                                       // 000000002D88: 7EB00280
	v_mov_b32_e32 v128, 0                                      // 000000002D8C: 7F000280
	v_mov_b32_e32 v89, 0                                       // 000000002D90: 7EB20280
	v_mov_b32_e32 v129, 0                                      // 000000002D94: 7F020280
	v_mov_b32_e32 v90, 0                                       // 000000002D98: 7EB40280
	v_mov_b32_e32 v130, 0                                      // 000000002D9C: 7F040280
	v_mov_b32_e32 v91, 0                                       // 000000002DA0: 7EB60280
	v_mov_b32_e32 v131, 0                                      // 000000002DA4: 7F060280
	v_mov_b32_e32 v92, 0                                       // 000000002DA8: 7EB80280
	v_mov_b32_e32 v132, 0                                      // 000000002DAC: 7F080280
	v_mov_b32_e32 v93, 0                                       // 000000002DB0: 7EBA0280
	v_mov_b32_e32 v133, 0                                      // 000000002DB4: 7F0A0280
	v_mov_b32_e32 v94, 0                                       // 000000002DB8: 7EBC0280
	v_mov_b32_e32 v134, 0                                      // 000000002DBC: 7F0C0280
	v_mov_b32_e32 v95, 0                                       // 000000002DC0: 7EBE0280
	v_mov_b32_e32 v135, 0                                      // 000000002DC4: 7F0E0280
	v_mov_b32_e32 v96, 0                                       // 000000002DC8: 7EC00280
	v_mov_b32_e32 v136, 0                                      // 000000002DCC: 7F100280
	v_mov_b32_e32 v97, 0                                       // 000000002DD0: 7EC20280
	v_mov_b32_e32 v137, 0                                      // 000000002DD4: 7F120280
	v_mov_b32_e32 v98, 0                                       // 000000002DD8: 7EC40280
	v_mov_b32_e32 v138, 0                                      // 000000002DDC: 7F140280
	v_mov_b32_e32 v99, 0                                       // 000000002DE0: 7EC60280
	v_mov_b32_e32 v139, 0                                      // 000000002DE4: 7F160280
	s_mul_i32 s60, s2, 0x100                                   // 000000002DE8: 923CFF02 00000100
	s_cmp_eq_u32 s88, 0                                        // 000000002DF0: BF068058
	s_cselect_b32 s61, 1, 2                                    // 000000002DF4: 853D8281
	s_mul_i32 s60, s60, s61                                    // 000000002DF8: 923C3D3C
	s_mov_b32 s90, s8                                          // 000000002DFC: BEDA0008
	s_mov_b32 s91, s9                                          // 000000002E00: BEDB0009
	s_add_u32 s8, s60, s8                                      // 000000002E04: 8008083C
	s_addc_u32 s9, 0, s9                                       // 000000002E08: 82090980
	v_lshrrev_b32_e32 v4, 4, v0                                // 000000002E0C: 20080084
	v_mul_lo_u32 v20, 34, v4                                   // 000000002E10: D2850014 000208A2
	v_and_b32_e32 v4, 15, v0                                   // 000000002E18: 2608008F
	v_mul_lo_u32 v5, 2, v4                                     // 000000002E1C: D2850005 00020882
	v_add_u32_e32 v20, v5, v20                                 // 000000002E24: 68282905
	s_mul_i32 s60, s7, 0x88                                    // 000000002E28: 923CFF07 00000088
	v_add_u32_e32 v20, s60, v20                                // 000000002E30: 6828283C
	v_lshlrev_b32_e32 v20, 2, v20                              // 000000002E34: 24282882
	v_and_b32_e32 v4, 31, v0                                   // 000000002E38: 2608009F
	v_lshrrev_b32_e32 v4, 1, v4                                // 000000002E3C: 20080881
	v_mul_lo_u32 v21, 34, v4                                   // 000000002E40: D2850015 000208A2
	v_lshrrev_b32_e32 v4, 5, v0                                // 000000002E48: 20080085
	v_mul_lo_u32 v4, 8, v4                                     // 000000002E4C: D2850004 00020888
	v_add_u32_e32 v21, v21, v4                                 // 000000002E54: 682A0915
	v_and_b32_e32 v5, 1, v0                                    // 000000002E58: 260A0081
	v_add_u32_e32 v21, v5, v21                                 // 000000002E5C: 682A2B05
	s_mul_i32 s60, s7, 2                                       // 000000002E60: 923C8207
	v_add_u32_e32 v21, s60, v21                                // 000000002E64: 682A2A3C
	v_lshlrev_b32_e32 v21, 2, v21                              // 000000002E68: 242A2A82
	s_mul_i32 s60, s7, 0xa20                                   // 000000002E6C: 923CFF07 00000A20
	s_add_u32 s48, 0, s60                                      // 000000002E74: 80303C80
	s_add_u32 s49, 0x2880, s48                                 // 000000002E78: 803130FF 00002880
	v_lshrrev_b32_e32 v4, 4, v0                                // 000000002E80: 20080084
	v_lshlrev_b32_e32 v5, 2, v4                                // 000000002E84: 240A0882
	v_and_b32_e32 v4, 15, v0                                   // 000000002E88: 2608008F
	v_lshrrev_b32_e32 v6, 2, v4                                // 000000002E8C: 200C0882
	v_lshlrev_b32_e32 v6, 5, v6                                // 000000002E90: 240C0C85
	v_add_u32_e32 v5, v6, v5                                   // 000000002E94: 680A0B06
	v_and_b32_e32 v4, 3, v0                                    // 000000002E98: 26080083
	v_mul_u32_u24_e32 v6, 0x288, v4                            // 000000002E9C: 100C08FF 00000288
	v_add_u32_e32 v5, v6, v5                                   // 000000002EA4: 680A0B06
	v_lshlrev_b32_e32 v2, 2, v5                                // 000000002EA8: 24040A82
	s_waitcnt lgkmcnt(0)                                       // 000000002EAC: BF8CC07F
	s_mul_i32 s60, s2, 0x80                                    // 000000002EB0: 923CFF02 00000080
	s_mul_i32 s60, s60, s69                                    // 000000002EB8: 923C453C
	s_mul_i32 s61, s5, s72                                     // 000000002EBC: 923D4805
	s_add_u32 s60, s61, s60                                    // 000000002EC0: 803C3C3D
	s_add_u32 s24, s60, s24                                    // 000000002EC4: 8018183C
	s_addc_u32 s25, 0, s25                                     // 000000002EC8: 82191980
	s_lshr_b32 s60, s64, s88                                   // 000000002ECC: 8F3C5840
	s_mul_i32 s60, s4, s60                                     // 000000002ED0: 923C3C04
	s_lshr_b32 s60, s60, 7                                     // 000000002ED4: 8F3C873C
	s_mul_i32 s60, s60, 0x800                                  // 000000002ED8: 923CFF3C 00000800
	s_add_u32 s24, s60, s24                                    // 000000002EE0: 8018183C
	s_addc_u32 s25, 0, s25                                     // 000000002EE4: 82191980
	s_lshr_b32 s60, s69, s88                                   // 000000002EE8: 8F3C5845
	s_mul_i32 s60, s4, s60                                     // 000000002EEC: 923C3C04
	s_add_u32 s20, s60, s20                                    // 000000002EF0: 8014143C
	s_addc_u32 s21, 0, s21                                     // 000000002EF4: 82151580
	s_mul_i32 s60, s7, 16                                      // 000000002EF8: 923C9007
	s_mul_i32 s60, s60, s69                                    // 000000002EFC: 923C453C
	v_lshlrev_b32_e32 v58, 4, v0                               // 000000002F00: 24740084
	v_add_u32_e32 v58, s60, v58                                // 000000002F04: 6874743C
	s_mul_i32 s60, 64, s69                                     // 000000002F08: 923C45C0
	v_add_u32_e32 v59, s60, v58                                // 000000002F0C: 6876743C
	s_mov_b32 s84, s24                                         // 000000002F10: BED40018
	s_mov_b32 s85, s25                                         // 000000002F14: BED50019
	s_mov_b32 s86, s26                                         // 000000002F18: BED6001A
	s_mov_b32 s87, s27                                         // 000000002F1C: BED7001B
	s_mul_i32 s60, s69, s65                                    // 000000002F20: 923C4145
	s_add_u32 s84, s60, s84                                    // 000000002F24: 8054543C
	s_addc_u32 s85, 0, s85                                     // 000000002F28: 82555580
	v_lshrrev_b32_e32 v4, 4, v0                                // 000000002F2C: 20080084
	v_lshlrev_b32_e32 v5, 2, v4                                // 000000002F30: 240A0882
	v_and_b32_e32 v4, 15, v0                                   // 000000002F34: 2608008F
	v_lshrrev_b32_e32 v6, 2, v4                                // 000000002F38: 200C0882
	v_lshlrev_b32_e32 v6, 6, v6                                // 000000002F3C: 240C0C86
	v_add_u32_e32 v5, v6, v5                                   // 000000002F40: 680A0B06
	v_and_b32_e32 v4, 3, v0                                    // 000000002F44: 26080083
	v_add_u32_e32 v5, v4, v5                                   // 000000002F48: 680A0B04
	v_lshlrev_b32_e32 v22, 2, v5                               // 000000002F4C: 242C0A82
	s_mul_i32 s60, s7, 16                                      // 000000002F50: 923C9007
	s_mul_i32 s60, s60, 4                                      // 000000002F54: 923C843C
	v_add_u32_e32 v22, s60, v22                                // 000000002F58: 682C2C3C
	s_mul_i32 s60, s2, 0x80                                    // 000000002F5C: 923CFF02 00000080
	s_mul_i32 s60, s60, 4                                      // 000000002F64: 923C843C
	s_mul_i32 s61, s5, s74                                     // 000000002F68: 923D4A05
	s_add_u32 s61, s61, s60                                    // 000000002F6C: 803D3C3D
	s_add_u32 s32, s61, s32                                    // 000000002F70: 8020203D
	s_addc_u32 s33, 0, s33                                     // 000000002F74: 82212180
	s_mov_b32 s57, 0x80                                        // 000000002F78: BEB900FF 00000080
	s_mov_b32 s58, 0x800                                       // 000000002F80: BEBA00FF 00000800
	s_mov_b32 s83, s58                                         // 000000002F88: BED3003A
	s_mov_b32 s52, 0x7060302                                   // 000000002F8C: BEB400FF 07060302
	s_mov_b32 s53, 0x400                                       // 000000002F94: BEB500FF 00000400
	s_mov_b32 s54, 0x40100                                     // 000000002F9C: BEB600FF 00040100
	s_mov_b32 s55, 0x4020100                                   // 000000002FA4: BEB700FF 04020100
	s_mov_b32 s6, 0x3fb8aa3b                                   // 000000002FAC: BE8600FF 3FB8AA3B
	s_mov_b32 s78, 0xbd92220c                                  // 000000002FB4: BECE00FF BD92220C
	s_mov_b32 s79, 0xbd92220c                                  // 000000002FBC: BECF00FF BD92220C
	s_mov_b32 m0, s48                                          // 000000002FC4: BEFC0030
	v_mov_b32_e32 v1, 0xbfcc4231                               // 000000002FC8: 7E0202FF BFCC4231
	v_mov_b32_e32 v17, 0xffff0000                              // 000000002FD0: 7E2202FF FFFF0000
	v_mov_b32_e32 v18, 0x7fff0000                              // 000000002FD8: 7E2402FF 7FFF0000
	v_mov_b32_e32 v19, 0x7fff                                  // 000000002FE0: 7E2602FF 00007FFF
	s_waitcnt vmcnt(0) expcnt(0) lgkmcnt(0)                    // 000000002FE8: BF8C0000
	s_mul_i32 s60, s3, 0x50                                    // 000000002FEC: 923CFF03 00000050
	s_mul_i32 s60, 4, s60                                      // 000000002FF4: 923C3C84
	s_add_u32 s40, s60, s40                                    // 000000002FF8: 8028283C
	s_addc_u32 s41, 0, s41                                     // 000000002FFC: 82292980
	v_and_b32_e32 v4, 15, v0                                   // 000000003000: 2608008F
	v_lshlrev_b32_e32 v4, 2, v4                                // 000000003004: 24080882
	buffer_load_dword v140, v4, s[40:43], 0 offen              // 000000003008: E0501000 800A8C04
	buffer_load_dword v141, v4, s[40:43], 0 offen offset:64    // 000000003010: E0501040 800A8D04
	buffer_load_dword v142, v4, s[40:43], 0 offen offset:128   // 000000003018: E0501080 800A8E04
	buffer_load_dword v143, v4, s[40:43], 0 offen offset:192   // 000000003020: E05010C0 800A8F04
	buffer_load_dword v144, v4, s[40:43], 0 offen offset:256   // 000000003028: E0501100 800A9004
	v_lshrrev_b32_e32 v4, 5, v0                                // 000000003030: 20080085
	v_xor_b32_e32 v5, 1, v4                                    // 000000003034: 2A0A0881
	v_readlane_b32 s82, v3, 0                                  // 000000003038: D2890052 00010103
	s_and_b32 s82, s82, 0xffffff                               // 000000003040: 8652FF52 00FFFFFF
	v_mul_lo_u32 v6, v5, s82                                   // 000000003048: D2850006 0000A505
	v_readlane_b32 s82, v3, 1                                  // 000000003050: D2890052 00010303
	s_and_b32 s82, s82, 0xffffff                               // 000000003058: 8652FF52 00FFFFFF
	v_mul_lo_u32 v7, v4, s82                                   // 000000003060: D2850007 0000A504
	v_add_u32_e32 v48, v6, v7                                  // 000000003068: 68600F06
	v_mul_lo_u32 v48, v48, s68                                 // 00000000306C: D2850030 00008930
	v_readlane_b32 s82, v3, 2                                  // 000000003074: D2890052 00010503
	s_and_b32 s82, s82, 0xffffff                               // 00000000307C: 8652FF52 00FFFFFF
	v_mul_lo_u32 v6, v5, s82                                   // 000000003084: D2850006 0000A505
	v_readlane_b32 s82, v3, 3                                  // 00000000308C: D2890052 00010703
	s_and_b32 s82, s82, 0xffffff                               // 000000003094: 8652FF52 00FFFFFF
	v_mul_lo_u32 v7, v4, s82                                   // 00000000309C: D2850007 0000A504
	v_add_u32_e32 v49, v6, v7                                  // 0000000030A4: 68620F06
	v_mul_lo_u32 v49, v49, s68                                 // 0000000030A8: D2850031 00008931
	v_readlane_b32 s82, v3, 4                                  // 0000000030B0: D2890052 00010903
	s_and_b32 s82, s82, 0xffffff                               // 0000000030B8: 8652FF52 00FFFFFF
	v_mul_lo_u32 v6, v5, s82                                   // 0000000030C0: D2850006 0000A505
	v_readlane_b32 s82, v3, 5                                  // 0000000030C8: D2890052 00010B03
	s_and_b32 s82, s82, 0xffffff                               // 0000000030D0: 8652FF52 00FFFFFF
	v_mul_lo_u32 v7, v4, s82                                   // 0000000030D8: D2850007 0000A504
	v_add_u32_e32 v50, v6, v7                                  // 0000000030E0: 68640F06
	v_mul_lo_u32 v50, v50, s68                                 // 0000000030E4: D2850032 00008932
	v_readlane_b32 s82, v3, 6                                  // 0000000030EC: D2890052 00010D03
	s_and_b32 s82, s82, 0xffffff                               // 0000000030F4: 8652FF52 00FFFFFF
	v_mul_lo_u32 v6, v5, s82                                   // 0000000030FC: D2850006 0000A505
	v_readlane_b32 s82, v3, 7                                  // 000000003104: D2890052 00010F03
	s_and_b32 s82, s82, 0xffffff                               // 00000000310C: 8652FF52 00FFFFFF
	v_mul_lo_u32 v7, v4, s82                                   // 000000003114: D2850007 0000A504
	v_add_u32_e32 v51, v6, v7                                  // 00000000311C: 68660F06
	v_mul_lo_u32 v51, v51, s68                                 // 000000003120: D2850033 00008933
	v_readlane_b32 s82, v3, 8                                  // 000000003128: D2890052 00011103
	s_and_b32 s82, s82, 0xffffff                               // 000000003130: 8652FF52 00FFFFFF
	v_mul_lo_u32 v6, v5, s82                                   // 000000003138: D2850006 0000A505
	v_readlane_b32 s82, v3, 9                                  // 000000003140: D2890052 00011303
	s_and_b32 s82, s82, 0xffffff                               // 000000003148: 8652FF52 00FFFFFF
	v_mul_lo_u32 v7, v4, s82                                   // 000000003150: D2850007 0000A504
	v_add_u32_e32 v52, v6, v7                                  // 000000003158: 68680F06
	v_mul_lo_u32 v52, v52, s68                                 // 00000000315C: D2850034 00008934
	v_readlane_b32 s82, v3, 10                                 // 000000003164: D2890052 00011503
	s_and_b32 s82, s82, 0xffffff                               // 00000000316C: 8652FF52 00FFFFFF
	v_mul_lo_u32 v6, v5, s82                                   // 000000003174: D2850006 0000A505
	v_readlane_b32 s82, v3, 11                                 // 00000000317C: D2890052 00011703
	s_and_b32 s82, s82, 0xffffff                               // 000000003184: 8652FF52 00FFFFFF
	v_mul_lo_u32 v7, v4, s82                                   // 00000000318C: D2850007 0000A504
	v_add_u32_e32 v53, v6, v7                                  // 000000003194: 686A0F06
	v_mul_lo_u32 v53, v53, s68                                 // 000000003198: D2850035 00008935
	v_readlane_b32 s82, v3, 12                                 // 0000000031A0: D2890052 00011903
	s_and_b32 s82, s82, 0xffffff                               // 0000000031A8: 8652FF52 00FFFFFF
	v_mul_lo_u32 v6, v5, s82                                   // 0000000031B0: D2850006 0000A505
	v_readlane_b32 s82, v3, 13                                 // 0000000031B8: D2890052 00011B03
	s_and_b32 s82, s82, 0xffffff                               // 0000000031C0: 8652FF52 00FFFFFF
	v_mul_lo_u32 v7, v4, s82                                   // 0000000031C8: D2850007 0000A504
	v_add_u32_e32 v54, v6, v7                                  // 0000000031D0: 686C0F06
	v_mul_lo_u32 v54, v54, s68                                 // 0000000031D4: D2850036 00008936
	v_readlane_b32 s82, v3, 14                                 // 0000000031DC: D2890052 00011D03
	s_and_b32 s82, s82, 0xffffff                               // 0000000031E4: 8652FF52 00FFFFFF
	v_mul_lo_u32 v6, v5, s82                                   // 0000000031EC: D2850006 0000A505
	v_readlane_b32 s82, v3, 15                                 // 0000000031F4: D2890052 00011F03
	s_and_b32 s82, s82, 0xffffff                               // 0000000031FC: 8652FF52 00FFFFFF
	v_mul_lo_u32 v7, v4, s82                                   // 000000003204: D2850007 0000A504
	v_add_u32_e32 v55, v6, v7                                  // 00000000320C: 686E0F06
	v_mul_lo_u32 v55, v55, s68                                 // 000000003210: D2850037 00008937
	v_readlane_b32 s82, v3, 16                                 // 000000003218: D2890052 00012103
	s_and_b32 s82, s82, 0xffffff                               // 000000003220: 8652FF52 00FFFFFF
	v_mul_lo_u32 v6, v5, s82                                   // 000000003228: D2850006 0000A505
	v_readlane_b32 s82, v3, 17                                 // 000000003230: D2890052 00012303
	s_and_b32 s82, s82, 0xffffff                               // 000000003238: 8652FF52 00FFFFFF
	v_mul_lo_u32 v7, v4, s82                                   // 000000003240: D2850007 0000A504
	v_add_u32_e32 v56, v6, v7                                  // 000000003248: 68700F06
	v_mul_lo_u32 v56, v56, s68                                 // 00000000324C: D2850038 00008938
	v_readlane_b32 s82, v3, 18                                 // 000000003254: D2890052 00012503
	s_and_b32 s82, s82, 0xffffff                               // 00000000325C: 8652FF52 00FFFFFF
	v_mul_lo_u32 v6, v5, s82                                   // 000000003264: D2850006 0000A505
	v_readlane_b32 s82, v3, 19                                 // 00000000326C: D2890052 00012703
	s_and_b32 s82, s82, 0xffffff                               // 000000003274: 8652FF52 00FFFFFF
	v_mul_lo_u32 v7, v4, s82                                   // 00000000327C: D2850007 0000A504
	v_add_u32_e32 v57, v6, v7                                  // 000000003284: 68720F06
	v_mul_lo_u32 v57, v57, s68                                 // 000000003288: D2850039 00008939
	v_and_b32_e32 v4, 31, v0                                   // 000000003290: 2608009F
	v_lshlrev_b32_e32 v4, 2, v4                                // 000000003294: 24080882
	v_add_u32_e32 v48, v48, v4                                 // 000000003298: 68600930
	v_add_u32_e32 v49, v49, v4                                 // 00000000329C: 68620931
	v_add_u32_e32 v50, v50, v4                                 // 0000000032A0: 68640932
	v_add_u32_e32 v51, v51, v4                                 // 0000000032A4: 68660933
	v_add_u32_e32 v52, v52, v4                                 // 0000000032A8: 68680934
	v_add_u32_e32 v53, v53, v4                                 // 0000000032AC: 686A0935
	v_add_u32_e32 v54, v54, v4                                 // 0000000032B0: 686C0936
	v_add_u32_e32 v55, v55, v4                                 // 0000000032B4: 686E0937
	v_add_u32_e32 v56, v56, v4                                 // 0000000032B8: 68700938
	v_add_u32_e32 v57, v57, v4                                 // 0000000032BC: 68720939
	v_and_b32_e32 v28, 0xffffff, v28                           // 0000000032C0: 263838FF 00FFFFFF
	v_lshlrev_b32_e32 v28, 2, v28                              // 0000000032C8: 24383882
	v_and_b32_e32 v29, 0xffffff, v29                           // 0000000032CC: 263A3AFF 00FFFFFF
	v_lshlrev_b32_e32 v29, 2, v29                              // 0000000032D4: 243A3A82
	v_and_b32_e32 v30, 0xffffff, v30                           // 0000000032D8: 263C3CFF 00FFFFFF
	v_lshlrev_b32_e32 v30, 2, v30                              // 0000000032E0: 243C3C82
	v_and_b32_e32 v31, 0xffffff, v31                           // 0000000032E4: 263E3EFF 00FFFFFF
	v_lshlrev_b32_e32 v31, 2, v31                              // 0000000032EC: 243E3E82
	v_and_b32_e32 v32, 0xffffff, v32                           // 0000000032F0: 264040FF 00FFFFFF
	v_lshlrev_b32_e32 v32, 2, v32                              // 0000000032F8: 24404082
	s_lshl_b32 s3, s66, 2                                      // 0000000032FC: 8E038242
	buffer_load_dword v33, v28, s[28:31], 0 offen              // 000000003300: E0501000 8007211C
	buffer_load_dword v34, v29, s[28:31], 0 offen              // 000000003308: E0501000 8007221D
	buffer_load_dword v35, v30, s[28:31], 0 offen              // 000000003310: E0501000 8007231E
	buffer_load_dword v36, v31, s[28:31], 0 offen              // 000000003318: E0501000 8007241F
	buffer_load_dword v37, v32, s[28:31], 0 offen              // 000000003320: E0501000 80072520
	buffer_load_dword v24, v22, s[32:35], 0 offen              // 000000003328: E0501000 80081816
	s_mul_i32 s60, 4, s65                                      // 000000003330: 923C4184
	s_add_u32 s32, s60, s32                                    // 000000003334: 8020203C
	s_addc_u32 s33, 0, s33                                     // 000000003338: 82212180
	buffer_load_dword v26, v22, s[32:35], 0 offen              // 00000000333C: E0501000 80081A16
	buffer_load_dword v48, s[20:23], 0 offen lds               // 000000003344: E0511000 80050030
	s_add_u32 m0, 0x100, s48                                   // 00000000334C: 807C30FF 00000100
	buffer_load_dword v49, s[20:23], 0 offen lds               // 000000003354: E0511000 80050031
	s_add_u32 m0, 0x200, s48                                   // 00000000335C: 807C30FF 00000200
	buffer_load_dword v50, s[20:23], 0 offen lds               // 000000003364: E0511000 80050032
	s_add_u32 m0, 0x300, s48                                   // 00000000336C: 807C30FF 00000300
	buffer_load_dword v51, s[20:23], 0 offen lds               // 000000003374: E0511000 80050033
	s_add_u32 m0, 0x400, s48                                   // 00000000337C: 807C30FF 00000400
	buffer_load_dword v52, s[20:23], 0 offen lds               // 000000003384: E0511000 80050034
	s_add_u32 m0, 0x500, s48                                   // 00000000338C: 807C30FF 00000500
	buffer_load_dword v53, s[20:23], 0 offen lds               // 000000003394: E0511000 80050035
	s_add_u32 m0, 0x600, s48                                   // 00000000339C: 807C30FF 00000600
	buffer_load_dword v54, s[20:23], 0 offen lds               // 0000000033A4: E0511000 80050036
	s_add_u32 m0, 0x700, s48                                   // 0000000033AC: 807C30FF 00000700
	buffer_load_dword v55, s[20:23], 0 offen lds               // 0000000033B4: E0511000 80050037
	s_add_u32 m0, 0x800, s48                                   // 0000000033BC: 807C30FF 00000800
	buffer_load_dword v56, s[20:23], 0 offen lds               // 0000000033C4: E0511000 80050038
	s_add_u32 m0, 0x900, s48                                   // 0000000033CC: 807C30FF 00000900
	buffer_load_dword v57, s[20:23], 0 offen lds               // 0000000033D4: E0511000 80050039
	s_add_u32 m0, 0, s49                                       // 0000000033DC: 807C3180
	s_add_u32 s20, s57, s20                                    // 0000000033E0: 80141439
	s_addc_u32 s21, 0, s21                                     // 0000000033E4: 82151580
	buffer_load_dword v48, s[20:23], 0 offen lds               // 0000000033E8: E0511000 80050030
	s_add_u32 m0, 0x100, s49                                   // 0000000033F0: 807C31FF 00000100
	buffer_load_dword v49, s[20:23], 0 offen lds               // 0000000033F8: E0511000 80050031
	s_add_u32 m0, 0x200, s49                                   // 000000003400: 807C31FF 00000200
	buffer_load_dword v50, s[20:23], 0 offen lds               // 000000003408: E0511000 80050032
	s_add_u32 m0, 0x300, s49                                   // 000000003410: 807C31FF 00000300
	buffer_load_dword v51, s[20:23], 0 offen lds               // 000000003418: E0511000 80050033
	;; [unrolled: 2-line block ×8, first 2 shown]
	s_add_u32 m0, 0, s48                                       // 000000003480: 807C3080
	s_add_u32 s20, s57, s20                                    // 000000003484: 80141439
	s_addc_u32 s21, 0, s21                                     // 000000003488: 82151580
	buffer_load_dwordx4 a[80:83], v58, s[24:27], 0 offen       // 00000000348C: E05C1000 8086503A
	buffer_load_dwordx4 a[84:87], v58, s[24:27], 0 offen offset:1024// 000000003494: E05C1400 8086543A
	buffer_load_dwordx4 a[88:91], v59, s[24:27], 0 offen       // 00000000349C: E05C1000 8086583B
	buffer_load_dwordx4 a[92:95], v59, s[24:27], 0 offen offset:1024// 0000000034A4: E05C1400 80865C3B
	s_add_u32 s24, s58, s24                                    // 0000000034AC: 8018183A
	s_addc_u32 s25, 0, s25                                     // 0000000034B0: 82191980
	s_waitcnt vmcnt(14)                                        // 0000000034B4: BF8C0F7E
	s_barrier                                                  // 0000000034B8: BF8A0000
	ds_read_b128 a[0:3], v2                                    // 0000000034BC: DBFE0000 00000002
	ds_read_b128 a[4:7], v2 offset:64                          // 0000000034C4: DBFE0040 04000002
	ds_read_b128 a[8:11], v2 offset:512                        // 0000000034CC: DBFE0200 08000002
	ds_read_b128 a[12:15], v2 offset:576                       // 0000000034D4: DBFE0240 0C000002
	ds_read_b128 a[16:19], v2 offset:1024                      // 0000000034DC: DBFE0400 10000002
	ds_read_b128 a[20:23], v2 offset:1088                      // 0000000034E4: DBFE0440 14000002
	ds_read_b128 a[24:27], v2 offset:1536                      // 0000000034EC: DBFE0600 18000002
	ds_read_b128 a[28:31], v2 offset:1600                      // 0000000034F4: DBFE0640 1C000002
	ds_read_b128 a[32:35], v2 offset:2048                      // 0000000034FC: DBFE0800 20000002
	ds_read_b128 a[36:39], v2 offset:2112                      // 000000003504: DBFE0840 24000002
	s_cmp_lt_i32 s7, 2                                         // 00000000350C: BF048207
	s_cbranch_scc0 label_10D1                                  // 000000003510: BF840E09

0000000000003514 <label_02C5>:
	s_waitcnt vmcnt(2) lgkmcnt(0)                              // 000000003514: BF8C0072
	s_barrier                                                  // 000000003518: BF8A0000
	v_mfma_f32_16x16x32_fp8_fp8 v[60:63], a[80:81], a[0:1], v[60:63]// 00000000351C: D3F3003C 1CF20150
	v_mfma_f32_16x16x32_fp8_fp8 v[60:63], a[82:83], a[2:3], v[60:63]// 000000003524: D3F3003C 1CF20552
	buffer_load_dwordx4 a[96:99], v58, s[84:87], 0 offen       // 00000000352C: E05C1000 8095603A
	v_mfma_f32_16x16x32_fp8_fp8 v[60:63], a[84:85], a[4:5], v[60:63]// 000000003534: D3F3003C 1CF20954
	v_mfma_f32_16x16x32_fp8_fp8 v[60:63], a[86:87], a[6:7], v[60:63]// 00000000353C: D3F3003C 1CF20D56
	v_mfma_f32_16x16x32_fp8_fp8 v[64:67], a[80:81], a[8:9], v[64:67]// 000000003544: D3F30040 1D021150
	v_mfma_f32_16x16x32_fp8_fp8 v[64:67], a[82:83], a[10:11], v[64:67]// 00000000354C: D3F30040 1D021552
	buffer_load_dwordx4 a[100:103], v58, s[84:87], 0 offen offset:1024// 000000003554: E05C1400 8095643A
	v_mfma_f32_16x16x32_fp8_fp8 v[64:67], a[84:85], a[12:13], v[64:67]// 00000000355C: D3F30040 1D021954
	v_mfma_f32_16x16x32_fp8_fp8 v[64:67], a[86:87], a[14:15], v[64:67]// 000000003564: D3F30040 1D021D56
	v_mfma_f32_16x16x32_fp8_fp8 v[68:71], a[80:81], a[16:17], v[68:71]// 00000000356C: D3F30044 1D122150
	v_mfma_f32_16x16x32_fp8_fp8 v[68:71], a[82:83], a[18:19], v[68:71]// 000000003574: D3F30044 1D122552
	buffer_load_dwordx4 a[104:107], v59, s[84:87], 0 offen     // 00000000357C: E05C1000 8095683B
	v_mfma_f32_16x16x32_fp8_fp8 v[68:71], a[84:85], a[20:21], v[68:71]// 000000003584: D3F30044 1D122954
	v_mfma_f32_16x16x32_fp8_fp8 v[68:71], a[86:87], a[22:23], v[68:71]// 00000000358C: D3F30044 1D122D56
	v_mfma_f32_16x16x32_fp8_fp8 v[72:75], a[80:81], a[24:25], v[72:75]// 000000003594: D3F30048 1D223150
	v_mfma_f32_16x16x32_fp8_fp8 v[72:75], a[82:83], a[26:27], v[72:75]// 00000000359C: D3F30048 1D223552
	buffer_load_dwordx4 a[108:111], v59, s[84:87], 0 offen offset:1024// 0000000035A4: E05C1400 80956C3B
	buffer_load_dword v48, s[20:23], 0 offen lds               // 0000000035AC: E0511000 80050030
	s_add_u32 m0, 0x100, s48                                   // 0000000035B4: 807C30FF 00000100
	v_mfma_f32_16x16x32_fp8_fp8 v[72:75], a[84:85], a[28:29], v[72:75]// 0000000035BC: D3F30048 1D223954
	v_mfma_f32_16x16x32_fp8_fp8 v[72:75], a[86:87], a[30:31], v[72:75]// 0000000035C4: D3F30048 1D223D56
	buffer_load_dword v49, s[20:23], 0 offen lds               // 0000000035CC: E0511000 80050031
	s_add_u32 m0, 0x200, s48                                   // 0000000035D4: 807C30FF 00000200
	v_mfma_f32_16x16x32_fp8_fp8 v[76:79], a[80:81], a[32:33], v[76:79]// 0000000035DC: D3F3004C 1D324150
	v_mfma_f32_16x16x32_fp8_fp8 v[76:79], a[82:83], a[34:35], v[76:79]// 0000000035E4: D3F3004C 1D324552
	buffer_load_dword v50, s[20:23], 0 offen lds               // 0000000035EC: E0511000 80050032
	s_add_u32 m0, 0x300, s48                                   // 0000000035F4: 807C30FF 00000300
	v_mfma_f32_16x16x32_fp8_fp8 v[76:79], a[84:85], a[36:37], v[76:79]// 0000000035FC: D3F3004C 1D324954
	v_mfma_f32_16x16x32_fp8_fp8 v[76:79], a[86:87], a[38:39], v[76:79]// 000000003604: D3F3004C 1D324D56
	buffer_load_dword v51, s[20:23], 0 offen lds               // 00000000360C: E0511000 80050033
	s_add_u32 m0, 0x400, s48                                   // 000000003614: 807C30FF 00000400
	s_waitcnt vmcnt(8)                                         // 00000000361C: BF8C0F78
	v_mfma_f32_16x16x32_fp8_fp8 v[80:83], a[88:89], a[0:1], v[80:83]// 000000003620: D3F30050 1D420158
	v_mfma_f32_16x16x32_fp8_fp8 v[80:83], a[90:91], a[2:3], v[80:83]// 000000003628: D3F30050 1D42055A
	buffer_load_dword v52, s[20:23], 0 offen lds               // 000000003630: E0511000 80050034
	s_add_u32 m0, 0x500, s48                                   // 000000003638: 807C30FF 00000500
	v_mfma_f32_16x16x32_fp8_fp8 v[80:83], a[92:93], a[4:5], v[80:83]// 000000003640: D3F30050 1D42095C
	v_mfma_f32_16x16x32_fp8_fp8 v[80:83], a[94:95], a[6:7], v[80:83]// 000000003648: D3F30050 1D420D5E
	buffer_load_dword v53, s[20:23], 0 offen lds               // 000000003650: E0511000 80050035
	s_add_u32 m0, 0x600, s48                                   // 000000003658: 807C30FF 00000600
	v_mfma_f32_16x16x32_fp8_fp8 v[84:87], a[88:89], a[8:9], v[84:87]// 000000003660: D3F30054 1D521158
	v_mfma_f32_16x16x32_fp8_fp8 v[84:87], a[90:91], a[10:11], v[84:87]// 000000003668: D3F30054 1D52155A
	buffer_load_dword v54, s[20:23], 0 offen lds               // 000000003670: E0511000 80050036
	s_add_u32 m0, 0x700, s48                                   // 000000003678: 807C30FF 00000700
	v_mfma_f32_16x16x32_fp8_fp8 v[84:87], a[92:93], a[12:13], v[84:87]// 000000003680: D3F30054 1D52195C
	v_mfma_f32_16x16x32_fp8_fp8 v[84:87], a[94:95], a[14:15], v[84:87]// 000000003688: D3F30054 1D521D5E
	buffer_load_dword v55, s[20:23], 0 offen lds               // 000000003690: E0511000 80050037
	s_add_u32 m0, 0x800, s48                                   // 000000003698: 807C30FF 00000800
	v_mfma_f32_16x16x32_fp8_fp8 v[88:91], a[88:89], a[16:17], v[88:91]// 0000000036A0: D3F30058 1D622158
	v_mfma_f32_16x16x32_fp8_fp8 v[88:91], a[90:91], a[18:19], v[88:91]// 0000000036A8: D3F30058 1D62255A
	buffer_load_dword v56, s[20:23], 0 offen lds               // 0000000036B0: E0511000 80050038
	s_add_u32 m0, 0x900, s48                                   // 0000000036B8: 807C30FF 00000900
	v_mfma_f32_16x16x32_fp8_fp8 v[88:91], a[92:93], a[20:21], v[88:91]// 0000000036C0: D3F30058 1D62295C
	v_mfma_f32_16x16x32_fp8_fp8 v[88:91], a[94:95], a[22:23], v[88:91]// 0000000036C8: D3F30058 1D622D5E
	buffer_load_dword v57, s[20:23], 0 offen lds               // 0000000036D0: E0511000 80050039
	s_add_u32 m0, 0, s49                                       // 0000000036D8: 807C3180
	v_mfma_f32_16x16x32_fp8_fp8 v[92:95], a[88:89], a[24:25], v[92:95]// 0000000036DC: D3F3005C 1D723158
	v_mfma_f32_16x16x32_fp8_fp8 v[92:95], a[90:91], a[26:27], v[92:95]// 0000000036E4: D3F3005C 1D72355A
	v_mfma_f32_16x16x32_fp8_fp8 v[92:95], a[92:93], a[28:29], v[92:95]// 0000000036EC: D3F3005C 1D72395C
	v_mfma_f32_16x16x32_fp8_fp8 v[92:95], a[94:95], a[30:31], v[92:95]// 0000000036F4: D3F3005C 1D723D5E
	v_mfma_f32_16x16x32_fp8_fp8 v[96:99], a[88:89], a[32:33], v[96:99]// 0000000036FC: D3F30060 1D824158
	v_mfma_f32_16x16x32_fp8_fp8 v[96:99], a[90:91], a[34:35], v[96:99]// 000000003704: D3F30060 1D82455A
	s_add_u32 s60, 0x80, s80                                   // 00000000370C: 803C50FF 00000080
	s_cmp_lt_u32 s60, s81                                      // 000000003714: BF0A513C
	s_cselect_b32 s83, s83, 0                                  // 000000003718: 85538053
	v_mfma_f32_16x16x32_fp8_fp8 v[96:99], a[92:93], a[36:37], v[96:99]// 00000000371C: D3F30060 1D82495C
	v_mfma_f32_16x16x32_fp8_fp8 v[96:99], a[94:95], a[38:39], v[96:99]// 000000003724: D3F30060 1D824D5E
	s_waitcnt vmcnt(10)                                        // 00000000372C: BF8C0F7A
	v_mfma_f32_16x16x32_fp8_fp8 v[100:103], a[96:97], a[0:1], v[100:103]// 000000003730: D3F30064 1D920160
	v_mfma_f32_16x16x32_fp8_fp8 v[100:103], a[98:99], a[2:3], v[100:103]// 000000003738: D3F30064 1D920562
	buffer_load_dwordx4 a[80:83], v58, s[24:27], 0 offen       // 000000003740: E05C1000 8086503A
	v_mfma_f32_16x16x32_fp8_fp8 v[100:103], a[100:101], a[4:5], v[100:103]// 000000003748: D3F30064 1D920964
	v_mfma_f32_16x16x32_fp8_fp8 v[100:103], a[102:103], a[6:7], v[100:103]// 000000003750: D3F30064 1D920D66
	ds_read_b128 a[40:43], v2 offset:10368                     // 000000003758: DBFE2880 28000002
	ds_read_b128 a[44:47], v2 offset:10432                     // 000000003760: DBFE28C0 2C000002
	v_mfma_f32_16x16x32_fp8_fp8 v[120:123], a[104:105], a[0:1], v[120:123]// 000000003768: D3F30078 1DE20168
	v_mfma_f32_16x16x32_fp8_fp8 v[120:123], a[106:107], a[2:3], v[120:123]// 000000003770: D3F30078 1DE2056A
	buffer_load_dwordx4 a[84:87], v58, s[24:27], 0 offen offset:1024// 000000003778: E05C1400 8086543A
	v_mfma_f32_16x16x32_fp8_fp8 v[120:123], a[108:109], a[4:5], v[120:123]// 000000003780: D3F30078 1DE2096C
	v_mfma_f32_16x16x32_fp8_fp8 v[120:123], a[110:111], a[6:7], v[120:123]// 000000003788: D3F30078 1DE20D6E
	ds_read_b128 a[48:51], v2 offset:10880                     // 000000003790: DBFE2A80 30000002
	ds_read_b128 a[52:55], v2 offset:10944                     // 000000003798: DBFE2AC0 34000002
	v_mfma_f32_16x16x32_fp8_fp8 v[104:107], a[96:97], a[8:9], v[104:107]// 0000000037A0: D3F30068 1DA21160
	v_mfma_f32_16x16x32_fp8_fp8 v[104:107], a[98:99], a[10:11], v[104:107]// 0000000037A8: D3F30068 1DA21562
	buffer_load_dwordx4 a[88:91], v59, s[24:27], 0 offen       // 0000000037B0: E05C1000 8086583B
	v_mfma_f32_16x16x32_fp8_fp8 v[104:107], a[100:101], a[12:13], v[104:107]// 0000000037B8: D3F30068 1DA21964
	v_mfma_f32_16x16x32_fp8_fp8 v[104:107], a[102:103], a[14:15], v[104:107]// 0000000037C0: D3F30068 1DA21D66
	ds_read_b128 a[56:59], v2 offset:11392                     // 0000000037C8: DBFE2C80 38000002
	ds_read_b128 a[60:63], v2 offset:11456                     // 0000000037D0: DBFE2CC0 3C000002
	v_mfma_f32_16x16x32_fp8_fp8 v[124:127], a[104:105], a[8:9], v[124:127]// 0000000037D8: D3F3007C 1DF21168
	v_mfma_f32_16x16x32_fp8_fp8 v[124:127], a[106:107], a[10:11], v[124:127]// 0000000037E0: D3F3007C 1DF2156A
	buffer_load_dwordx4 a[92:95], v59, s[24:27], 0 offen offset:1024// 0000000037E8: E05C1400 80865C3B
	v_mfma_f32_16x16x32_fp8_fp8 v[124:127], a[108:109], a[12:13], v[124:127]// 0000000037F0: D3F3007C 1DF2196C
	v_mfma_f32_16x16x32_fp8_fp8 v[124:127], a[110:111], a[14:15], v[124:127]// 0000000037F8: D3F3007C 1DF21D6E
	ds_read_b128 a[64:67], v2 offset:11904                     // 000000003800: DBFE2E80 40000002
	ds_read_b128 a[68:71], v2 offset:11968                     // 000000003808: DBFE2EC0 44000002
	v_mfma_f32_16x16x32_fp8_fp8 v[108:111], a[96:97], a[16:17], v[108:111]// 000000003810: D3F3006C 1DB22160
	v_mfma_f32_16x16x32_fp8_fp8 v[108:111], a[98:99], a[18:19], v[108:111]// 000000003818: D3F3006C 1DB22562
	v_mfma_f32_16x16x32_fp8_fp8 v[108:111], a[100:101], a[20:21], v[108:111]// 000000003820: D3F3006C 1DB22964
	v_mfma_f32_16x16x32_fp8_fp8 v[108:111], a[102:103], a[22:23], v[108:111]// 000000003828: D3F3006C 1DB22D66
	ds_read_b128 a[72:75], v2 offset:12416                     // 000000003830: DBFE3080 48000002
	ds_read_b128 a[76:79], v2 offset:12480                     // 000000003838: DBFE30C0 4C000002
	v_mfma_f32_16x16x32_fp8_fp8 v[128:131], a[104:105], a[16:17], v[128:131]// 000000003840: D3F30080 1E022168
	v_mfma_f32_16x16x32_fp8_fp8 v[128:131], a[106:107], a[18:19], v[128:131]// 000000003848: D3F30080 1E02256A
	v_mfma_f32_16x16x32_fp8_fp8 v[128:131], a[108:109], a[20:21], v[128:131]// 000000003850: D3F30080 1E02296C
	v_mfma_f32_16x16x32_fp8_fp8 v[128:131], a[110:111], a[22:23], v[128:131]// 000000003858: D3F30080 1E022D6E
	v_mfma_f32_16x16x32_fp8_fp8 v[112:115], a[96:97], a[24:25], v[112:115]// 000000003860: D3F30070 1DC23160
	v_mfma_f32_16x16x32_fp8_fp8 v[112:115], a[98:99], a[26:27], v[112:115]// 000000003868: D3F30070 1DC23562
	v_mfma_f32_16x16x32_fp8_fp8 v[112:115], a[100:101], a[28:29], v[112:115]// 000000003870: D3F30070 1DC23964
	v_mfma_f32_16x16x32_fp8_fp8 v[112:115], a[102:103], a[30:31], v[112:115]// 000000003878: D3F30070 1DC23D66
	v_mfma_f32_16x16x32_fp8_fp8 v[132:135], a[104:105], a[24:25], v[132:135]// 000000003880: D3F30084 1E123168
	v_mfma_f32_16x16x32_fp8_fp8 v[132:135], a[106:107], a[26:27], v[132:135]// 000000003888: D3F30084 1E12356A
	v_mfma_f32_16x16x32_fp8_fp8 v[132:135], a[108:109], a[28:29], v[132:135]// 000000003890: D3F30084 1E12396C
	v_mfma_f32_16x16x32_fp8_fp8 v[132:135], a[110:111], a[30:31], v[132:135]// 000000003898: D3F30084 1E123D6E
	v_mfma_f32_16x16x32_fp8_fp8 v[116:119], a[96:97], a[32:33], v[116:119]// 0000000038A0: D3F30074 1DD24160
	v_mfma_f32_16x16x32_fp8_fp8 v[116:119], a[98:99], a[34:35], v[116:119]// 0000000038A8: D3F30074 1DD24562
	v_mfma_f32_16x16x32_fp8_fp8 v[116:119], a[100:101], a[36:37], v[116:119]// 0000000038B0: D3F30074 1DD24964
	s_add_u32 s60, 0x180, s80                                  // 0000000038B8: 803C50FF 00000180
	s_cmp_lt_u32 s60, s81                                      // 0000000038C0: BF0A513C
	s_cselect_b32 s57, s57, 0                                  // 0000000038C4: 85398039
	v_mfma_f32_16x16x32_fp8_fp8 v[116:119], a[102:103], a[38:39], v[116:119]// 0000000038C8: D3F30074 1DD24D66
	s_add_u32 s60, 0x100, s80                                  // 0000000038D0: 803C50FF 00000100
	s_cmp_lt_u32 s60, s81                                      // 0000000038D8: BF0A513C
	s_cselect_b32 s58, s58, 0                                  // 0000000038DC: 853A803A
	v_mfma_f32_16x16x32_fp8_fp8 v[136:139], a[104:105], a[32:33], v[136:139]// 0000000038E0: D3F30088 1E224168
	s_add_u32 s24, s58, s24                                    // 0000000038E8: 8018183A
	s_addc_u32 s25, 0, s25                                     // 0000000038EC: 82191980
	v_mfma_f32_16x16x32_fp8_fp8 v[136:139], a[106:107], a[34:35], v[136:139]// 0000000038F0: D3F30088 1E22456A
	s_add_u32 s20, s57, s20                                    // 0000000038F8: 80141439
	s_addc_u32 s21, 0, s21                                     // 0000000038FC: 82151580
	v_mfma_f32_16x16x32_fp8_fp8 v[136:139], a[108:109], a[36:37], v[136:139]// 000000003900: D3F30088 1E22496C
	s_add_u32 s84, s83, s84                                    // 000000003908: 80545453
	s_addc_u32 s85, 0, s85                                     // 00000000390C: 82555580
	v_mfma_f32_16x16x32_fp8_fp8 v[136:139], a[110:111], a[38:39], v[136:139]// 000000003910: D3F30088 1E224D6E
	s_addk_i32 s80, 0x80                                       // 000000003918: B7500080
	s_cmp_lt_i32 s80, s81                                      // 00000000391C: BF045150
	s_cbranch_scc0 label_04CE                                  // 000000003920: BF840105
	s_waitcnt vmcnt(2) lgkmcnt(0)                              // 000000003924: BF8C0072
	s_barrier                                                  // 000000003928: BF8A0000
	v_mfma_f32_16x16x32_fp8_fp8 v[60:63], a[80:81], a[40:41], v[60:63]// 00000000392C: D3F3003C 1CF25150
	v_mfma_f32_16x16x32_fp8_fp8 v[60:63], a[82:83], a[42:43], v[60:63]// 000000003934: D3F3003C 1CF25552
	buffer_load_dwordx4 a[96:99], v58, s[84:87], 0 offen       // 00000000393C: E05C1000 8095603A
	v_mfma_f32_16x16x32_fp8_fp8 v[60:63], a[84:85], a[44:45], v[60:63]// 000000003944: D3F3003C 1CF25954
	v_mfma_f32_16x16x32_fp8_fp8 v[60:63], a[86:87], a[46:47], v[60:63]// 00000000394C: D3F3003C 1CF25D56
	v_mfma_f32_16x16x32_fp8_fp8 v[64:67], a[80:81], a[48:49], v[64:67]// 000000003954: D3F30040 1D026150
	v_mfma_f32_16x16x32_fp8_fp8 v[64:67], a[82:83], a[50:51], v[64:67]// 00000000395C: D3F30040 1D026552
	buffer_load_dwordx4 a[100:103], v58, s[84:87], 0 offen offset:1024// 000000003964: E05C1400 8095643A
	v_mfma_f32_16x16x32_fp8_fp8 v[64:67], a[84:85], a[52:53], v[64:67]// 00000000396C: D3F30040 1D026954
	v_mfma_f32_16x16x32_fp8_fp8 v[64:67], a[86:87], a[54:55], v[64:67]// 000000003974: D3F30040 1D026D56
	v_mfma_f32_16x16x32_fp8_fp8 v[68:71], a[80:81], a[56:57], v[68:71]// 00000000397C: D3F30044 1D127150
	v_mfma_f32_16x16x32_fp8_fp8 v[68:71], a[82:83], a[58:59], v[68:71]// 000000003984: D3F30044 1D127552
	buffer_load_dwordx4 a[104:107], v59, s[84:87], 0 offen     // 00000000398C: E05C1000 8095683B
	v_mfma_f32_16x16x32_fp8_fp8 v[68:71], a[84:85], a[60:61], v[68:71]// 000000003994: D3F30044 1D127954
	v_mfma_f32_16x16x32_fp8_fp8 v[68:71], a[86:87], a[62:63], v[68:71]// 00000000399C: D3F30044 1D127D56
	v_mfma_f32_16x16x32_fp8_fp8 v[72:75], a[80:81], a[64:65], v[72:75]// 0000000039A4: D3F30048 1D228150
	v_mfma_f32_16x16x32_fp8_fp8 v[72:75], a[82:83], a[66:67], v[72:75]// 0000000039AC: D3F30048 1D228552
	buffer_load_dwordx4 a[108:111], v59, s[84:87], 0 offen offset:1024// 0000000039B4: E05C1400 80956C3B
	buffer_load_dword v48, s[20:23], 0 offen lds               // 0000000039BC: E0511000 80050030
	s_add_u32 m0, 0x100, s49                                   // 0000000039C4: 807C31FF 00000100
	v_mfma_f32_16x16x32_fp8_fp8 v[72:75], a[84:85], a[68:69], v[72:75]// 0000000039CC: D3F30048 1D228954
	v_mfma_f32_16x16x32_fp8_fp8 v[72:75], a[86:87], a[70:71], v[72:75]// 0000000039D4: D3F30048 1D228D56
	buffer_load_dword v49, s[20:23], 0 offen lds               // 0000000039DC: E0511000 80050031
	s_add_u32 m0, 0x200, s49                                   // 0000000039E4: 807C31FF 00000200
	v_mfma_f32_16x16x32_fp8_fp8 v[76:79], a[80:81], a[72:73], v[76:79]// 0000000039EC: D3F3004C 1D329150
	v_mfma_f32_16x16x32_fp8_fp8 v[76:79], a[82:83], a[74:75], v[76:79]// 0000000039F4: D3F3004C 1D329552
	buffer_load_dword v50, s[20:23], 0 offen lds               // 0000000039FC: E0511000 80050032
	s_add_u32 m0, 0x300, s49                                   // 000000003A04: 807C31FF 00000300
	v_mfma_f32_16x16x32_fp8_fp8 v[76:79], a[84:85], a[76:77], v[76:79]// 000000003A0C: D3F3004C 1D329954
	v_mfma_f32_16x16x32_fp8_fp8 v[76:79], a[86:87], a[78:79], v[76:79]// 000000003A14: D3F3004C 1D329D56
	buffer_load_dword v51, s[20:23], 0 offen lds               // 000000003A1C: E0511000 80050033
	s_add_u32 m0, 0x400, s49                                   // 000000003A24: 807C31FF 00000400
	s_waitcnt vmcnt(8)                                         // 000000003A2C: BF8C0F78
	v_mfma_f32_16x16x32_fp8_fp8 v[80:83], a[88:89], a[40:41], v[80:83]// 000000003A30: D3F30050 1D425158
	v_mfma_f32_16x16x32_fp8_fp8 v[80:83], a[90:91], a[42:43], v[80:83]// 000000003A38: D3F30050 1D42555A
	buffer_load_dword v52, s[20:23], 0 offen lds               // 000000003A40: E0511000 80050034
	s_add_u32 m0, 0x500, s49                                   // 000000003A48: 807C31FF 00000500
	v_mfma_f32_16x16x32_fp8_fp8 v[80:83], a[92:93], a[44:45], v[80:83]// 000000003A50: D3F30050 1D42595C
	v_mfma_f32_16x16x32_fp8_fp8 v[80:83], a[94:95], a[46:47], v[80:83]// 000000003A58: D3F30050 1D425D5E
	buffer_load_dword v53, s[20:23], 0 offen lds               // 000000003A60: E0511000 80050035
	s_add_u32 m0, 0x600, s49                                   // 000000003A68: 807C31FF 00000600
	v_mfma_f32_16x16x32_fp8_fp8 v[84:87], a[88:89], a[48:49], v[84:87]// 000000003A70: D3F30054 1D526158
	v_mfma_f32_16x16x32_fp8_fp8 v[84:87], a[90:91], a[50:51], v[84:87]// 000000003A78: D3F30054 1D52655A
	buffer_load_dword v54, s[20:23], 0 offen lds               // 000000003A80: E0511000 80050036
	s_add_u32 m0, 0x700, s49                                   // 000000003A88: 807C31FF 00000700
	v_mfma_f32_16x16x32_fp8_fp8 v[84:87], a[92:93], a[52:53], v[84:87]// 000000003A90: D3F30054 1D52695C
	v_mfma_f32_16x16x32_fp8_fp8 v[84:87], a[94:95], a[54:55], v[84:87]// 000000003A98: D3F30054 1D526D5E
	buffer_load_dword v55, s[20:23], 0 offen lds               // 000000003AA0: E0511000 80050037
	s_add_u32 m0, 0x800, s49                                   // 000000003AA8: 807C31FF 00000800
	v_mfma_f32_16x16x32_fp8_fp8 v[88:91], a[88:89], a[56:57], v[88:91]// 000000003AB0: D3F30058 1D627158
	v_mfma_f32_16x16x32_fp8_fp8 v[88:91], a[90:91], a[58:59], v[88:91]// 000000003AB8: D3F30058 1D62755A
	buffer_load_dword v56, s[20:23], 0 offen lds               // 000000003AC0: E0511000 80050038
	s_add_u32 m0, 0x900, s49                                   // 000000003AC8: 807C31FF 00000900
	v_mfma_f32_16x16x32_fp8_fp8 v[88:91], a[92:93], a[60:61], v[88:91]// 000000003AD0: D3F30058 1D62795C
	v_mfma_f32_16x16x32_fp8_fp8 v[88:91], a[94:95], a[62:63], v[88:91]// 000000003AD8: D3F30058 1D627D5E
	buffer_load_dword v57, s[20:23], 0 offen lds               // 000000003AE0: E0511000 80050039
	s_add_u32 m0, 0, s48                                       // 000000003AE8: 807C3080
	v_mfma_f32_16x16x32_fp8_fp8 v[92:95], a[88:89], a[64:65], v[92:95]// 000000003AEC: D3F3005C 1D728158
	v_mfma_f32_16x16x32_fp8_fp8 v[92:95], a[90:91], a[66:67], v[92:95]// 000000003AF4: D3F3005C 1D72855A
	v_mfma_f32_16x16x32_fp8_fp8 v[92:95], a[92:93], a[68:69], v[92:95]// 000000003AFC: D3F3005C 1D72895C
	v_mfma_f32_16x16x32_fp8_fp8 v[92:95], a[94:95], a[70:71], v[92:95]// 000000003B04: D3F3005C 1D728D5E
	v_mfma_f32_16x16x32_fp8_fp8 v[96:99], a[88:89], a[72:73], v[96:99]// 000000003B0C: D3F30060 1D829158
	v_mfma_f32_16x16x32_fp8_fp8 v[96:99], a[90:91], a[74:75], v[96:99]// 000000003B14: D3F30060 1D82955A
	s_add_u32 s60, 0x80, s80                                   // 000000003B1C: 803C50FF 00000080
	s_cmp_lt_u32 s60, s81                                      // 000000003B24: BF0A513C
	s_cselect_b32 s83, s83, 0                                  // 000000003B28: 85538053
	v_mfma_f32_16x16x32_fp8_fp8 v[96:99], a[92:93], a[76:77], v[96:99]// 000000003B2C: D3F30060 1D82995C
	v_mfma_f32_16x16x32_fp8_fp8 v[96:99], a[94:95], a[78:79], v[96:99]// 000000003B34: D3F30060 1D829D5E
	s_waitcnt vmcnt(10)                                        // 000000003B3C: BF8C0F7A
	v_mfma_f32_16x16x32_fp8_fp8 v[100:103], a[96:97], a[40:41], v[100:103]// 000000003B40: D3F30064 1D925160
	v_mfma_f32_16x16x32_fp8_fp8 v[100:103], a[98:99], a[42:43], v[100:103]// 000000003B48: D3F30064 1D925562
	buffer_load_dwordx4 a[80:83], v58, s[24:27], 0 offen       // 000000003B50: E05C1000 8086503A
	v_mfma_f32_16x16x32_fp8_fp8 v[100:103], a[100:101], a[44:45], v[100:103]// 000000003B58: D3F30064 1D925964
	v_mfma_f32_16x16x32_fp8_fp8 v[100:103], a[102:103], a[46:47], v[100:103]// 000000003B60: D3F30064 1D925D66
	ds_read_b128 a[0:3], v2                                    // 000000003B68: DBFE0000 00000002
	ds_read_b128 a[4:7], v2 offset:64                          // 000000003B70: DBFE0040 04000002
	v_mfma_f32_16x16x32_fp8_fp8 v[120:123], a[104:105], a[40:41], v[120:123]// 000000003B78: D3F30078 1DE25168
	v_mfma_f32_16x16x32_fp8_fp8 v[120:123], a[106:107], a[42:43], v[120:123]// 000000003B80: D3F30078 1DE2556A
	buffer_load_dwordx4 a[84:87], v58, s[24:27], 0 offen offset:1024// 000000003B88: E05C1400 8086543A
	v_mfma_f32_16x16x32_fp8_fp8 v[120:123], a[108:109], a[44:45], v[120:123]// 000000003B90: D3F30078 1DE2596C
	v_mfma_f32_16x16x32_fp8_fp8 v[120:123], a[110:111], a[46:47], v[120:123]// 000000003B98: D3F30078 1DE25D6E
	ds_read_b128 a[8:11], v2 offset:512                        // 000000003BA0: DBFE0200 08000002
	ds_read_b128 a[12:15], v2 offset:576                       // 000000003BA8: DBFE0240 0C000002
	v_mfma_f32_16x16x32_fp8_fp8 v[104:107], a[96:97], a[48:49], v[104:107]// 000000003BB0: D3F30068 1DA26160
	v_mfma_f32_16x16x32_fp8_fp8 v[104:107], a[98:99], a[50:51], v[104:107]// 000000003BB8: D3F30068 1DA26562
	buffer_load_dwordx4 a[88:91], v59, s[24:27], 0 offen       // 000000003BC0: E05C1000 8086583B
	v_mfma_f32_16x16x32_fp8_fp8 v[104:107], a[100:101], a[52:53], v[104:107]// 000000003BC8: D3F30068 1DA26964
	v_mfma_f32_16x16x32_fp8_fp8 v[104:107], a[102:103], a[54:55], v[104:107]// 000000003BD0: D3F30068 1DA26D66
	ds_read_b128 a[16:19], v2 offset:1024                      // 000000003BD8: DBFE0400 10000002
	ds_read_b128 a[20:23], v2 offset:1088                      // 000000003BE0: DBFE0440 14000002
	v_mfma_f32_16x16x32_fp8_fp8 v[124:127], a[104:105], a[48:49], v[124:127]// 000000003BE8: D3F3007C 1DF26168
	v_mfma_f32_16x16x32_fp8_fp8 v[124:127], a[106:107], a[50:51], v[124:127]// 000000003BF0: D3F3007C 1DF2656A
	buffer_load_dwordx4 a[92:95], v59, s[24:27], 0 offen offset:1024// 000000003BF8: E05C1400 80865C3B
	v_mfma_f32_16x16x32_fp8_fp8 v[124:127], a[108:109], a[52:53], v[124:127]// 000000003C00: D3F3007C 1DF2696C
	v_mfma_f32_16x16x32_fp8_fp8 v[124:127], a[110:111], a[54:55], v[124:127]// 000000003C08: D3F3007C 1DF26D6E
	ds_read_b128 a[24:27], v2 offset:1536                      // 000000003C10: DBFE0600 18000002
	ds_read_b128 a[28:31], v2 offset:1600                      // 000000003C18: DBFE0640 1C000002
	v_mfma_f32_16x16x32_fp8_fp8 v[108:111], a[96:97], a[56:57], v[108:111]// 000000003C20: D3F3006C 1DB27160
	v_mfma_f32_16x16x32_fp8_fp8 v[108:111], a[98:99], a[58:59], v[108:111]// 000000003C28: D3F3006C 1DB27562
	v_mfma_f32_16x16x32_fp8_fp8 v[108:111], a[100:101], a[60:61], v[108:111]// 000000003C30: D3F3006C 1DB27964
	v_mfma_f32_16x16x32_fp8_fp8 v[108:111], a[102:103], a[62:63], v[108:111]// 000000003C38: D3F3006C 1DB27D66
	ds_read_b128 a[32:35], v2 offset:2048                      // 000000003C40: DBFE0800 20000002
	ds_read_b128 a[36:39], v2 offset:2112                      // 000000003C48: DBFE0840 24000002
	v_mfma_f32_16x16x32_fp8_fp8 v[128:131], a[104:105], a[56:57], v[128:131]// 000000003C50: D3F30080 1E027168
	v_mfma_f32_16x16x32_fp8_fp8 v[128:131], a[106:107], a[58:59], v[128:131]// 000000003C58: D3F30080 1E02756A
	v_mfma_f32_16x16x32_fp8_fp8 v[128:131], a[108:109], a[60:61], v[128:131]// 000000003C60: D3F30080 1E02796C
	v_mfma_f32_16x16x32_fp8_fp8 v[128:131], a[110:111], a[62:63], v[128:131]// 000000003C68: D3F30080 1E027D6E
	v_mfma_f32_16x16x32_fp8_fp8 v[112:115], a[96:97], a[64:65], v[112:115]// 000000003C70: D3F30070 1DC28160
	v_mfma_f32_16x16x32_fp8_fp8 v[112:115], a[98:99], a[66:67], v[112:115]// 000000003C78: D3F30070 1DC28562
	v_mfma_f32_16x16x32_fp8_fp8 v[112:115], a[100:101], a[68:69], v[112:115]// 000000003C80: D3F30070 1DC28964
	v_mfma_f32_16x16x32_fp8_fp8 v[112:115], a[102:103], a[70:71], v[112:115]// 000000003C88: D3F30070 1DC28D66
	v_mfma_f32_16x16x32_fp8_fp8 v[132:135], a[104:105], a[64:65], v[132:135]// 000000003C90: D3F30084 1E128168
	v_mfma_f32_16x16x32_fp8_fp8 v[132:135], a[106:107], a[66:67], v[132:135]// 000000003C98: D3F30084 1E12856A
	v_mfma_f32_16x16x32_fp8_fp8 v[132:135], a[108:109], a[68:69], v[132:135]// 000000003CA0: D3F30084 1E12896C
	v_mfma_f32_16x16x32_fp8_fp8 v[132:135], a[110:111], a[70:71], v[132:135]// 000000003CA8: D3F30084 1E128D6E
	v_mfma_f32_16x16x32_fp8_fp8 v[116:119], a[96:97], a[72:73], v[116:119]// 000000003CB0: D3F30074 1DD29160
	v_mfma_f32_16x16x32_fp8_fp8 v[116:119], a[98:99], a[74:75], v[116:119]// 000000003CB8: D3F30074 1DD29562
	v_mfma_f32_16x16x32_fp8_fp8 v[116:119], a[100:101], a[76:77], v[116:119]// 000000003CC0: D3F30074 1DD29964
	s_add_u32 s60, 0x180, s80                                  // 000000003CC8: 803C50FF 00000180
	s_cmp_lt_u32 s60, s81                                      // 000000003CD0: BF0A513C
	s_cselect_b32 s57, s57, 0                                  // 000000003CD4: 85398039
	v_mfma_f32_16x16x32_fp8_fp8 v[116:119], a[102:103], a[78:79], v[116:119]// 000000003CD8: D3F30074 1DD29D66
	s_add_u32 s60, 0x100, s80                                  // 000000003CE0: 803C50FF 00000100
	s_cmp_lt_u32 s60, s81                                      // 000000003CE8: BF0A513C
	s_cselect_b32 s58, s58, 0                                  // 000000003CEC: 853A803A
	v_mfma_f32_16x16x32_fp8_fp8 v[136:139], a[104:105], a[72:73], v[136:139]// 000000003CF0: D3F30088 1E229168
	s_add_u32 s24, s58, s24                                    // 000000003CF8: 8018183A
	s_addc_u32 s25, 0, s25                                     // 000000003CFC: 82191980
	v_mfma_f32_16x16x32_fp8_fp8 v[136:139], a[106:107], a[74:75], v[136:139]// 000000003D00: D3F30088 1E22956A
	s_add_u32 s20, s57, s20                                    // 000000003D08: 80141439
	s_addc_u32 s21, 0, s21                                     // 000000003D0C: 82151580
	v_mfma_f32_16x16x32_fp8_fp8 v[136:139], a[108:109], a[76:77], v[136:139]// 000000003D10: D3F30088 1E22996C
	s_add_u32 s84, s83, s84                                    // 000000003D18: 80545453
	s_addc_u32 s85, 0, s85                                     // 000000003D1C: 82555580
	v_mfma_f32_16x16x32_fp8_fp8 v[136:139], a[110:111], a[78:79], v[136:139]// 000000003D20: D3F30088 1E229D6E
	s_addk_i32 s80, 0x80                                       // 000000003D28: B7500080
	s_cmp_lt_i32 s80, s81                                      // 000000003D2C: BF045150
	s_cbranch_scc0 label_04CE                                  // 000000003D30: BF840001
	s_branch label_02C5                                        // 000000003D34: BF82FDF7

0000000000003d38 <label_04CE>:
	v_mul_f32_dpp v60, v24, v60 row_newbcast:0 row_mask:0xf bank_mask:0xf// 000000003D38: 0A7878FA FF015018
	v_mul_f32_dpp v61, v24, v61 row_newbcast:1 row_mask:0xf bank_mask:0xf// 000000003D40: 0A7A7AFA FF015118
	v_mul_f32_dpp v62, v24, v62 row_newbcast:2 row_mask:0xf bank_mask:0xf// 000000003D48: 0A7C7CFA FF015218
	v_mul_f32_dpp v63, v24, v63 row_newbcast:3 row_mask:0xf bank_mask:0xf// 000000003D50: 0A7E7EFA FF015318
	v_mul_f32_dpp v64, v24, v64 row_newbcast:0 row_mask:0xf bank_mask:0xf// 000000003D58: 0A8080FA FF015018
	v_mul_f32_dpp v65, v24, v65 row_newbcast:1 row_mask:0xf bank_mask:0xf// 000000003D60: 0A8282FA FF015118
	v_mul_f32_dpp v66, v24, v66 row_newbcast:2 row_mask:0xf bank_mask:0xf// 000000003D68: 0A8484FA FF015218
	v_mul_f32_dpp v67, v24, v67 row_newbcast:3 row_mask:0xf bank_mask:0xf// 000000003D70: 0A8686FA FF015318
	v_mul_f32_dpp v68, v24, v68 row_newbcast:0 row_mask:0xf bank_mask:0xf// 000000003D78: 0A8888FA FF015018
	v_mul_f32_dpp v69, v24, v69 row_newbcast:1 row_mask:0xf bank_mask:0xf// 000000003D80: 0A8A8AFA FF015118
	v_mul_f32_dpp v70, v24, v70 row_newbcast:2 row_mask:0xf bank_mask:0xf// 000000003D88: 0A8C8CFA FF015218
	v_mul_f32_dpp v71, v24, v71 row_newbcast:3 row_mask:0xf bank_mask:0xf// 000000003D90: 0A8E8EFA FF015318
	v_mul_f32_dpp v72, v24, v72 row_newbcast:0 row_mask:0xf bank_mask:0xf// 000000003D98: 0A9090FA FF015018
	v_mul_f32_dpp v73, v24, v73 row_newbcast:1 row_mask:0xf bank_mask:0xf// 000000003DA0: 0A9292FA FF015118
	v_mul_f32_dpp v74, v24, v74 row_newbcast:2 row_mask:0xf bank_mask:0xf// 000000003DA8: 0A9494FA FF015218
	v_mul_f32_dpp v75, v24, v75 row_newbcast:3 row_mask:0xf bank_mask:0xf// 000000003DB0: 0A9696FA FF015318
	v_mul_f32_dpp v76, v24, v76 row_newbcast:0 row_mask:0xf bank_mask:0xf// 000000003DB8: 0A9898FA FF015018
	v_mul_f32_dpp v77, v24, v77 row_newbcast:1 row_mask:0xf bank_mask:0xf// 000000003DC0: 0A9A9AFA FF015118
	v_mul_f32_dpp v78, v24, v78 row_newbcast:2 row_mask:0xf bank_mask:0xf// 000000003DC8: 0A9C9CFA FF015218
	v_mul_f32_dpp v79, v24, v79 row_newbcast:3 row_mask:0xf bank_mask:0xf// 000000003DD0: 0A9E9EFA FF015318
	v_mul_f32_dpp v80, v24, v80 row_newbcast:4 row_mask:0xf bank_mask:0xf// 000000003DD8: 0AA0A0FA FF015418
	v_mul_f32_dpp v81, v24, v81 row_newbcast:5 row_mask:0xf bank_mask:0xf// 000000003DE0: 0AA2A2FA FF015518
	v_mul_f32_dpp v82, v24, v82 row_newbcast:6 row_mask:0xf bank_mask:0xf// 000000003DE8: 0AA4A4FA FF015618
	v_mul_f32_dpp v83, v24, v83 row_newbcast:7 row_mask:0xf bank_mask:0xf// 000000003DF0: 0AA6A6FA FF015718
	v_mul_f32_dpp v84, v24, v84 row_newbcast:4 row_mask:0xf bank_mask:0xf// 000000003DF8: 0AA8A8FA FF015418
	v_mul_f32_dpp v85, v24, v85 row_newbcast:5 row_mask:0xf bank_mask:0xf// 000000003E00: 0AAAAAFA FF015518
	v_mul_f32_dpp v86, v24, v86 row_newbcast:6 row_mask:0xf bank_mask:0xf// 000000003E08: 0AACACFA FF015618
	v_mul_f32_dpp v87, v24, v87 row_newbcast:7 row_mask:0xf bank_mask:0xf// 000000003E10: 0AAEAEFA FF015718
	v_mul_f32_dpp v88, v24, v88 row_newbcast:4 row_mask:0xf bank_mask:0xf// 000000003E18: 0AB0B0FA FF015418
	v_mul_f32_dpp v89, v24, v89 row_newbcast:5 row_mask:0xf bank_mask:0xf// 000000003E20: 0AB2B2FA FF015518
	v_mul_f32_dpp v90, v24, v90 row_newbcast:6 row_mask:0xf bank_mask:0xf// 000000003E28: 0AB4B4FA FF015618
	v_mul_f32_dpp v91, v24, v91 row_newbcast:7 row_mask:0xf bank_mask:0xf// 000000003E30: 0AB6B6FA FF015718
	v_mul_f32_dpp v92, v24, v92 row_newbcast:4 row_mask:0xf bank_mask:0xf// 000000003E38: 0AB8B8FA FF015418
	v_mul_f32_dpp v93, v24, v93 row_newbcast:5 row_mask:0xf bank_mask:0xf// 000000003E40: 0ABABAFA FF015518
	v_mul_f32_dpp v94, v24, v94 row_newbcast:6 row_mask:0xf bank_mask:0xf// 000000003E48: 0ABCBCFA FF015618
	v_mul_f32_dpp v95, v24, v95 row_newbcast:7 row_mask:0xf bank_mask:0xf// 000000003E50: 0ABEBEFA FF015718
	v_mul_f32_dpp v96, v24, v96 row_newbcast:4 row_mask:0xf bank_mask:0xf// 000000003E58: 0AC0C0FA FF015418
	v_mul_f32_dpp v97, v24, v97 row_newbcast:5 row_mask:0xf bank_mask:0xf// 000000003E60: 0AC2C2FA FF015518
	v_mul_f32_dpp v98, v24, v98 row_newbcast:6 row_mask:0xf bank_mask:0xf// 000000003E68: 0AC4C4FA FF015618
	v_mul_f32_dpp v99, v24, v99 row_newbcast:7 row_mask:0xf bank_mask:0xf// 000000003E70: 0AC6C6FA FF015718
	v_mul_f32_dpp v100, v26, v100 row_newbcast:0 row_mask:0xf bank_mask:0xf// 000000003E78: 0AC8C8FA FF01501A
	v_mul_f32_dpp v101, v26, v101 row_newbcast:1 row_mask:0xf bank_mask:0xf// 000000003E80: 0ACACAFA FF01511A
	v_mul_f32_dpp v102, v26, v102 row_newbcast:2 row_mask:0xf bank_mask:0xf// 000000003E88: 0ACCCCFA FF01521A
	v_mul_f32_dpp v103, v26, v103 row_newbcast:3 row_mask:0xf bank_mask:0xf// 000000003E90: 0ACECEFA FF01531A
	v_mul_f32_dpp v104, v26, v104 row_newbcast:0 row_mask:0xf bank_mask:0xf// 000000003E98: 0AD0D0FA FF01501A
	v_mul_f32_dpp v105, v26, v105 row_newbcast:1 row_mask:0xf bank_mask:0xf// 000000003EA0: 0AD2D2FA FF01511A
	v_mul_f32_dpp v106, v26, v106 row_newbcast:2 row_mask:0xf bank_mask:0xf// 000000003EA8: 0AD4D4FA FF01521A
	v_mul_f32_dpp v107, v26, v107 row_newbcast:3 row_mask:0xf bank_mask:0xf// 000000003EB0: 0AD6D6FA FF01531A
	v_mul_f32_dpp v108, v26, v108 row_newbcast:0 row_mask:0xf bank_mask:0xf// 000000003EB8: 0AD8D8FA FF01501A
	v_mul_f32_dpp v109, v26, v109 row_newbcast:1 row_mask:0xf bank_mask:0xf// 000000003EC0: 0ADADAFA FF01511A
	v_mul_f32_dpp v110, v26, v110 row_newbcast:2 row_mask:0xf bank_mask:0xf// 000000003EC8: 0ADCDCFA FF01521A
	v_mul_f32_dpp v111, v26, v111 row_newbcast:3 row_mask:0xf bank_mask:0xf// 000000003ED0: 0ADEDEFA FF01531A
	v_mul_f32_dpp v112, v26, v112 row_newbcast:0 row_mask:0xf bank_mask:0xf// 000000003ED8: 0AE0E0FA FF01501A
	v_mul_f32_dpp v113, v26, v113 row_newbcast:1 row_mask:0xf bank_mask:0xf// 000000003EE0: 0AE2E2FA FF01511A
	v_mul_f32_dpp v114, v26, v114 row_newbcast:2 row_mask:0xf bank_mask:0xf// 000000003EE8: 0AE4E4FA FF01521A
	v_mul_f32_dpp v115, v26, v115 row_newbcast:3 row_mask:0xf bank_mask:0xf// 000000003EF0: 0AE6E6FA FF01531A
	v_mul_f32_dpp v116, v26, v116 row_newbcast:0 row_mask:0xf bank_mask:0xf// 000000003EF8: 0AE8E8FA FF01501A
	v_mul_f32_dpp v117, v26, v117 row_newbcast:1 row_mask:0xf bank_mask:0xf// 000000003F00: 0AEAEAFA FF01511A
	v_mul_f32_dpp v118, v26, v118 row_newbcast:2 row_mask:0xf bank_mask:0xf// 000000003F08: 0AECECFA FF01521A
	v_mul_f32_dpp v119, v26, v119 row_newbcast:3 row_mask:0xf bank_mask:0xf// 000000003F10: 0AEEEEFA FF01531A
	v_mul_f32_dpp v120, v26, v120 row_newbcast:4 row_mask:0xf bank_mask:0xf// 000000003F18: 0AF0F0FA FF01541A
	v_mul_f32_dpp v121, v26, v121 row_newbcast:5 row_mask:0xf bank_mask:0xf// 000000003F20: 0AF2F2FA FF01551A
	v_mul_f32_dpp v122, v26, v122 row_newbcast:6 row_mask:0xf bank_mask:0xf// 000000003F28: 0AF4F4FA FF01561A
	v_mul_f32_dpp v123, v26, v123 row_newbcast:7 row_mask:0xf bank_mask:0xf// 000000003F30: 0AF6F6FA FF01571A
	v_mul_f32_dpp v124, v26, v124 row_newbcast:4 row_mask:0xf bank_mask:0xf// 000000003F38: 0AF8F8FA FF01541A
	v_mul_f32_dpp v125, v26, v125 row_newbcast:5 row_mask:0xf bank_mask:0xf// 000000003F40: 0AFAFAFA FF01551A
	v_mul_f32_dpp v126, v26, v126 row_newbcast:6 row_mask:0xf bank_mask:0xf// 000000003F48: 0AFCFCFA FF01561A
	v_mul_f32_dpp v127, v26, v127 row_newbcast:7 row_mask:0xf bank_mask:0xf// 000000003F50: 0AFEFEFA FF01571A
	v_mul_f32_dpp v128, v26, v128 row_newbcast:4 row_mask:0xf bank_mask:0xf// 000000003F58: 0B0100FA FF01541A
	v_mul_f32_dpp v129, v26, v129 row_newbcast:5 row_mask:0xf bank_mask:0xf// 000000003F60: 0B0302FA FF01551A
	v_mul_f32_dpp v130, v26, v130 row_newbcast:6 row_mask:0xf bank_mask:0xf// 000000003F68: 0B0504FA FF01561A
	v_mul_f32_dpp v131, v26, v131 row_newbcast:7 row_mask:0xf bank_mask:0xf// 000000003F70: 0B0706FA FF01571A
	v_mul_f32_dpp v132, v26, v132 row_newbcast:4 row_mask:0xf bank_mask:0xf// 000000003F78: 0B0908FA FF01541A
	v_mul_f32_dpp v133, v26, v133 row_newbcast:5 row_mask:0xf bank_mask:0xf// 000000003F80: 0B0B0AFA FF01551A
	v_mul_f32_dpp v134, v26, v134 row_newbcast:6 row_mask:0xf bank_mask:0xf// 000000003F88: 0B0D0CFA FF01561A
	v_mul_f32_dpp v135, v26, v135 row_newbcast:7 row_mask:0xf bank_mask:0xf// 000000003F90: 0B0F0EFA FF01571A
	v_mul_f32_dpp v136, v26, v136 row_newbcast:4 row_mask:0xf bank_mask:0xf// 000000003F98: 0B1110FA FF01541A
	v_mul_f32_dpp v137, v26, v137 row_newbcast:5 row_mask:0xf bank_mask:0xf// 000000003FA0: 0B1312FA FF01551A
	v_mul_f32_dpp v138, v26, v138 row_newbcast:6 row_mask:0xf bank_mask:0xf// 000000003FA8: 0B1514FA FF01561A
	v_mul_f32_dpp v139, v26, v139 row_newbcast:7 row_mask:0xf bank_mask:0xf// 000000003FB0: 0B1716FA FF01571A
	v_mul_f32_e32 v33, v33, v140                               // 000000003FB8: 0A431921
	v_mov_b32_e32 v4, v33                                      // 000000003FBC: 7E080321
	v_mov_b32_e32 v5, v4                                       // 000000003FC0: 7E0A0304
	v_pk_mul_f32 v[60:61], v[4:5], v[60:61]                    // 000000003FC4: D3B1403C 18027904
	v_pk_mul_f32 v[100:101], v[4:5], v[100:101]                // 000000003FCC: D3B14064 1802C904
	v_pk_mul_f32 v[62:63], v[4:5], v[62:63]                    // 000000003FD4: D3B1403E 18027D04
	v_pk_mul_f32 v[102:103], v[4:5], v[102:103]                // 000000003FDC: D3B14066 1802CD04
	v_pk_mul_f32 v[80:81], v[4:5], v[80:81]                    // 000000003FE4: D3B14050 1802A104
	v_pk_mul_f32 v[120:121], v[4:5], v[120:121]                // 000000003FEC: D3B14078 1802F104
	v_pk_mul_f32 v[82:83], v[4:5], v[82:83]                    // 000000003FF4: D3B14052 1802A504
	v_pk_mul_f32 v[122:123], v[4:5], v[122:123]                // 000000003FFC: D3B1407A 1802F504
	v_mul_f32_e32 v34, v34, v141                               // 000000004004: 0A451B22
	v_mov_b32_e32 v4, v34                                      // 000000004008: 7E080322
	v_mov_b32_e32 v5, v4                                       // 00000000400C: 7E0A0304
	v_pk_mul_f32 v[64:65], v[4:5], v[64:65]                    // 000000004010: D3B14040 18028104
	v_pk_mul_f32 v[104:105], v[4:5], v[104:105]                // 000000004018: D3B14068 1802D104
	v_pk_mul_f32 v[66:67], v[4:5], v[66:67]                    // 000000004020: D3B14042 18028504
	v_pk_mul_f32 v[106:107], v[4:5], v[106:107]                // 000000004028: D3B1406A 1802D504
	v_pk_mul_f32 v[84:85], v[4:5], v[84:85]                    // 000000004030: D3B14054 1802A904
	v_pk_mul_f32 v[124:125], v[4:5], v[124:125]                // 000000004038: D3B1407C 1802F904
	v_pk_mul_f32 v[86:87], v[4:5], v[86:87]                    // 000000004040: D3B14056 1802AD04
	v_pk_mul_f32 v[126:127], v[4:5], v[126:127]                // 000000004048: D3B1407E 1802FD04
	v_mul_f32_e32 v35, v35, v142                               // 000000004050: 0A471D23
	v_mov_b32_e32 v4, v35                                      // 000000004054: 7E080323
	v_mov_b32_e32 v5, v4                                       // 000000004058: 7E0A0304
	v_pk_mul_f32 v[68:69], v[4:5], v[68:69]                    // 00000000405C: D3B14044 18028904
	v_pk_mul_f32 v[108:109], v[4:5], v[108:109]                // 000000004064: D3B1406C 1802D904
	v_pk_mul_f32 v[70:71], v[4:5], v[70:71]                    // 00000000406C: D3B14046 18028D04
	v_pk_mul_f32 v[110:111], v[4:5], v[110:111]                // 000000004074: D3B1406E 1802DD04
	v_pk_mul_f32 v[88:89], v[4:5], v[88:89]                    // 00000000407C: D3B14058 1802B104
	v_pk_mul_f32 v[128:129], v[4:5], v[128:129]                // 000000004084: D3B14080 18030104
	v_pk_mul_f32 v[90:91], v[4:5], v[90:91]                    // 00000000408C: D3B1405A 1802B504
	v_pk_mul_f32 v[130:131], v[4:5], v[130:131]                // 000000004094: D3B14082 18030504
	v_mul_f32_e32 v36, v36, v143                               // 00000000409C: 0A491F24
	v_mov_b32_e32 v4, v36                                      // 0000000040A0: 7E080324
	v_mov_b32_e32 v5, v4                                       // 0000000040A4: 7E0A0304
	v_pk_mul_f32 v[72:73], v[4:5], v[72:73]                    // 0000000040A8: D3B14048 18029104
	v_pk_mul_f32 v[112:113], v[4:5], v[112:113]                // 0000000040B0: D3B14070 1802E104
	v_pk_mul_f32 v[74:75], v[4:5], v[74:75]                    // 0000000040B8: D3B1404A 18029504
	v_pk_mul_f32 v[114:115], v[4:5], v[114:115]                // 0000000040C0: D3B14072 1802E504
	v_pk_mul_f32 v[92:93], v[4:5], v[92:93]                    // 0000000040C8: D3B1405C 1802B904
	v_pk_mul_f32 v[132:133], v[4:5], v[132:133]                // 0000000040D0: D3B14084 18030904
	v_pk_mul_f32 v[94:95], v[4:5], v[94:95]                    // 0000000040D8: D3B1405E 1802BD04
	v_pk_mul_f32 v[134:135], v[4:5], v[134:135]                // 0000000040E0: D3B14086 18030D04
	v_mul_f32_e32 v37, v37, v144                               // 0000000040E8: 0A4B2125
	v_mov_b32_e32 v4, v37                                      // 0000000040EC: 7E080325
	v_mov_b32_e32 v5, v4                                       // 0000000040F0: 7E0A0304
	v_pk_mul_f32 v[76:77], v[4:5], v[76:77]                    // 0000000040F4: D3B1404C 18029904
	v_pk_mul_f32 v[116:117], v[4:5], v[116:117]                // 0000000040FC: D3B14074 1802E904
	v_pk_mul_f32 v[78:79], v[4:5], v[78:79]                    // 000000004104: D3B1404E 18029D04
	v_pk_mul_f32 v[118:119], v[4:5], v[118:119]                // 00000000410C: D3B14076 1802ED04
	v_pk_mul_f32 v[96:97], v[4:5], v[96:97]                    // 000000004114: D3B14060 1802C104
	v_pk_mul_f32 v[136:137], v[4:5], v[136:137]                // 00000000411C: D3B14088 18031104
	v_pk_mul_f32 v[98:99], v[4:5], v[98:99]                    // 000000004124: D3B14062 1802C504
	v_pk_mul_f32 v[138:139], v[4:5], v[138:139]                // 00000000412C: D3B1408A 18031504
	s_cmp_eq_u32 s88, 0                                        // 000000004134: BF068058
	s_cbranch_scc0 label_0BB8                                  // 000000004138: BF8405E9
	s_cmp_eq_u32 s89, 0                                        // 00000000413C: BF068059
	s_cbranch_scc1 label_0766                                  // 000000004140: BF850195
	v_mov_b32_e32 v8, v1                                       // 000000004144: 7E100301
	v_mov_b32_e32 v9, v1                                       // 000000004148: 7E120301
	s_mov_b32 s60, s6                                          // 00000000414C: BEBC0006
	s_mov_b32 s61, s6                                          // 000000004150: BEBD0006
	v_pk_mul_f32 v[4:5], v[60:61], v[60:61]                    // 000000004154: D3B14004 1802793C
	v_pk_mul_f32 v[6:7], v[62:63], v[62:63]                    // 00000000415C: D3B14006 18027D3E
	v_pk_fma_f32 v[4:5], v[4:5], s[78:79], v[8:9]              // 000000004164: D3B04004 1C209D04
	v_pk_fma_f32 v[6:7], v[6:7], s[78:79], v[8:9]              // 00000000416C: D3B04006 1C209D06
	v_pk_mul_f32 v[4:5], v[4:5], v[60:61]                      // 000000004174: D3B14004 18027904
	v_pk_mul_f32 v[6:7], v[6:7], v[62:63]                      // 00000000417C: D3B14006 18027D06
	v_pk_mul_f32 v[4:5], v[4:5], s[60:61]                      // 000000004184: D3B14004 18007904
	v_pk_mul_f32 v[6:7], v[6:7], s[60:61]                      // 00000000418C: D3B14006 18007906
	v_exp_f32_e32 v4, v4                                       // 000000004194: 7E084104
	v_exp_f32_e32 v5, v5                                       // 000000004198: 7E0A4105
	v_exp_f32_e32 v6, v6                                       // 00000000419C: 7E0C4106
	v_exp_f32_e32 v7, v7                                       // 0000000041A0: 7E0E4107
	v_add_f32_e64 v4, v4, 1.0                                  // 0000000041A4: D1010004 0001E504
	v_add_f32_e64 v5, v5, 1.0                                  // 0000000041AC: D1010005 0001E505
	v_add_f32_e64 v6, v6, 1.0                                  // 0000000041B4: D1010006 0001E506
	v_add_f32_e64 v7, v7, 1.0                                  // 0000000041BC: D1010007 0001E507
	v_rcp_f32_e32 v4, v4                                       // 0000000041C4: 7E084504
	v_rcp_f32_e32 v5, v5                                       // 0000000041C8: 7E0A4505
	v_rcp_f32_e32 v6, v6                                       // 0000000041CC: 7E0C4506
	v_rcp_f32_e32 v7, v7                                       // 0000000041D0: 7E0E4507
	v_mul_f32_e32 v60, v60, v4                                 // 0000000041D4: 0A78093C
	v_mul_f32_e32 v61, v61, v5                                 // 0000000041D8: 0A7A0B3D
	v_mul_f32_e32 v62, v62, v6                                 // 0000000041DC: 0A7C0D3E
	v_mul_f32_e32 v63, v63, v7                                 // 0000000041E0: 0A7E0F3F
	v_mul_f32_e32 v60, v60, v100                               // 0000000041E4: 0A78C93C
	v_mul_f32_e32 v61, v61, v101                               // 0000000041E8: 0A7ACB3D
	v_mul_f32_e32 v62, v62, v102                               // 0000000041EC: 0A7CCD3E
	v_mul_f32_e32 v63, v63, v103                               // 0000000041F0: 0A7ECF3F
	v_pk_mul_f32 v[4:5], v[64:65], v[64:65]                    // 0000000041F4: D3B14004 18028140
	v_pk_mul_f32 v[6:7], v[66:67], v[66:67]                    // 0000000041FC: D3B14006 18028542
	v_pk_fma_f32 v[4:5], v[4:5], s[78:79], v[8:9]              // 000000004204: D3B04004 1C209D04
	v_pk_fma_f32 v[6:7], v[6:7], s[78:79], v[8:9]              // 00000000420C: D3B04006 1C209D06
	v_pk_mul_f32 v[4:5], v[4:5], v[64:65]                      // 000000004214: D3B14004 18028104
	v_pk_mul_f32 v[6:7], v[6:7], v[66:67]                      // 00000000421C: D3B14006 18028506
	v_pk_mul_f32 v[4:5], v[4:5], s[60:61]                      // 000000004224: D3B14004 18007904
	v_pk_mul_f32 v[6:7], v[6:7], s[60:61]                      // 00000000422C: D3B14006 18007906
	v_exp_f32_e32 v4, v4                                       // 000000004234: 7E084104
	v_exp_f32_e32 v5, v5                                       // 000000004238: 7E0A4105
	v_exp_f32_e32 v6, v6                                       // 00000000423C: 7E0C4106
	v_exp_f32_e32 v7, v7                                       // 000000004240: 7E0E4107
	v_add_f32_e64 v4, v4, 1.0                                  // 000000004244: D1010004 0001E504
	v_add_f32_e64 v5, v5, 1.0                                  // 00000000424C: D1010005 0001E505
	v_add_f32_e64 v6, v6, 1.0                                  // 000000004254: D1010006 0001E506
	v_add_f32_e64 v7, v7, 1.0                                  // 00000000425C: D1010007 0001E507
	v_rcp_f32_e32 v4, v4                                       // 000000004264: 7E084504
	v_rcp_f32_e32 v5, v5                                       // 000000004268: 7E0A4505
	v_rcp_f32_e32 v6, v6                                       // 00000000426C: 7E0C4506
	v_rcp_f32_e32 v7, v7                                       // 000000004270: 7E0E4507
	v_mul_f32_e32 v64, v64, v4                                 // 000000004274: 0A800940
	v_mul_f32_e32 v65, v65, v5                                 // 000000004278: 0A820B41
	v_mul_f32_e32 v66, v66, v6                                 // 00000000427C: 0A840D42
	v_mul_f32_e32 v67, v67, v7                                 // 000000004280: 0A860F43
	v_mul_f32_e32 v64, v64, v104                               // 000000004284: 0A80D140
	v_mul_f32_e32 v65, v65, v105                               // 000000004288: 0A82D341
	v_mul_f32_e32 v66, v66, v106                               // 00000000428C: 0A84D542
	v_mul_f32_e32 v67, v67, v107                               // 000000004290: 0A86D743
	v_pk_mul_f32 v[4:5], v[68:69], v[68:69]                    // 000000004294: D3B14004 18028944
	v_pk_mul_f32 v[6:7], v[70:71], v[70:71]                    // 00000000429C: D3B14006 18028D46
	v_pk_fma_f32 v[4:5], v[4:5], s[78:79], v[8:9]              // 0000000042A4: D3B04004 1C209D04
	v_pk_fma_f32 v[6:7], v[6:7], s[78:79], v[8:9]              // 0000000042AC: D3B04006 1C209D06
	v_pk_mul_f32 v[4:5], v[4:5], v[68:69]                      // 0000000042B4: D3B14004 18028904
	v_pk_mul_f32 v[6:7], v[6:7], v[70:71]                      // 0000000042BC: D3B14006 18028D06
	v_pk_mul_f32 v[4:5], v[4:5], s[60:61]                      // 0000000042C4: D3B14004 18007904
	v_pk_mul_f32 v[6:7], v[6:7], s[60:61]                      // 0000000042CC: D3B14006 18007906
	v_exp_f32_e32 v4, v4                                       // 0000000042D4: 7E084104
	v_exp_f32_e32 v5, v5                                       // 0000000042D8: 7E0A4105
	v_exp_f32_e32 v6, v6                                       // 0000000042DC: 7E0C4106
	v_exp_f32_e32 v7, v7                                       // 0000000042E0: 7E0E4107
	v_add_f32_e64 v4, v4, 1.0                                  // 0000000042E4: D1010004 0001E504
	v_add_f32_e64 v5, v5, 1.0                                  // 0000000042EC: D1010005 0001E505
	v_add_f32_e64 v6, v6, 1.0                                  // 0000000042F4: D1010006 0001E506
	v_add_f32_e64 v7, v7, 1.0                                  // 0000000042FC: D1010007 0001E507
	v_rcp_f32_e32 v4, v4                                       // 000000004304: 7E084504
	v_rcp_f32_e32 v5, v5                                       // 000000004308: 7E0A4505
	v_rcp_f32_e32 v6, v6                                       // 00000000430C: 7E0C4506
	v_rcp_f32_e32 v7, v7                                       // 000000004310: 7E0E4507
	v_mul_f32_e32 v68, v68, v4                                 // 000000004314: 0A880944
	v_mul_f32_e32 v69, v69, v5                                 // 000000004318: 0A8A0B45
	v_mul_f32_e32 v70, v70, v6                                 // 00000000431C: 0A8C0D46
	v_mul_f32_e32 v71, v71, v7                                 // 000000004320: 0A8E0F47
	v_mul_f32_e32 v68, v68, v108                               // 000000004324: 0A88D944
	v_mul_f32_e32 v69, v69, v109                               // 000000004328: 0A8ADB45
	v_mul_f32_e32 v70, v70, v110                               // 00000000432C: 0A8CDD46
	v_mul_f32_e32 v71, v71, v111                               // 000000004330: 0A8EDF47
	v_pk_mul_f32 v[4:5], v[72:73], v[72:73]                    // 000000004334: D3B14004 18029148
	v_pk_mul_f32 v[6:7], v[74:75], v[74:75]                    // 00000000433C: D3B14006 1802954A
	v_pk_fma_f32 v[4:5], v[4:5], s[78:79], v[8:9]              // 000000004344: D3B04004 1C209D04
	v_pk_fma_f32 v[6:7], v[6:7], s[78:79], v[8:9]              // 00000000434C: D3B04006 1C209D06
	v_pk_mul_f32 v[4:5], v[4:5], v[72:73]                      // 000000004354: D3B14004 18029104
	v_pk_mul_f32 v[6:7], v[6:7], v[74:75]                      // 00000000435C: D3B14006 18029506
	v_pk_mul_f32 v[4:5], v[4:5], s[60:61]                      // 000000004364: D3B14004 18007904
	v_pk_mul_f32 v[6:7], v[6:7], s[60:61]                      // 00000000436C: D3B14006 18007906
	v_exp_f32_e32 v4, v4                                       // 000000004374: 7E084104
	v_exp_f32_e32 v5, v5                                       // 000000004378: 7E0A4105
	v_exp_f32_e32 v6, v6                                       // 00000000437C: 7E0C4106
	v_exp_f32_e32 v7, v7                                       // 000000004380: 7E0E4107
	v_add_f32_e64 v4, v4, 1.0                                  // 000000004384: D1010004 0001E504
	v_add_f32_e64 v5, v5, 1.0                                  // 00000000438C: D1010005 0001E505
	v_add_f32_e64 v6, v6, 1.0                                  // 000000004394: D1010006 0001E506
	v_add_f32_e64 v7, v7, 1.0                                  // 00000000439C: D1010007 0001E507
	v_rcp_f32_e32 v4, v4                                       // 0000000043A4: 7E084504
	v_rcp_f32_e32 v5, v5                                       // 0000000043A8: 7E0A4505
	v_rcp_f32_e32 v6, v6                                       // 0000000043AC: 7E0C4506
	v_rcp_f32_e32 v7, v7                                       // 0000000043B0: 7E0E4507
	v_mul_f32_e32 v72, v72, v4                                 // 0000000043B4: 0A900948
	v_mul_f32_e32 v73, v73, v5                                 // 0000000043B8: 0A920B49
	v_mul_f32_e32 v74, v74, v6                                 // 0000000043BC: 0A940D4A
	v_mul_f32_e32 v75, v75, v7                                 // 0000000043C0: 0A960F4B
	v_mul_f32_e32 v72, v72, v112                               // 0000000043C4: 0A90E148
	v_mul_f32_e32 v73, v73, v113                               // 0000000043C8: 0A92E349
	v_mul_f32_e32 v74, v74, v114                               // 0000000043CC: 0A94E54A
	v_mul_f32_e32 v75, v75, v115                               // 0000000043D0: 0A96E74B
	v_pk_mul_f32 v[4:5], v[76:77], v[76:77]                    // 0000000043D4: D3B14004 1802994C
	v_pk_mul_f32 v[6:7], v[78:79], v[78:79]                    // 0000000043DC: D3B14006 18029D4E
	v_pk_fma_f32 v[4:5], v[4:5], s[78:79], v[8:9]              // 0000000043E4: D3B04004 1C209D04
	v_pk_fma_f32 v[6:7], v[6:7], s[78:79], v[8:9]              // 0000000043EC: D3B04006 1C209D06
	v_pk_mul_f32 v[4:5], v[4:5], v[76:77]                      // 0000000043F4: D3B14004 18029904
	v_pk_mul_f32 v[6:7], v[6:7], v[78:79]                      // 0000000043FC: D3B14006 18029D06
	v_pk_mul_f32 v[4:5], v[4:5], s[60:61]                      // 000000004404: D3B14004 18007904
	v_pk_mul_f32 v[6:7], v[6:7], s[60:61]                      // 00000000440C: D3B14006 18007906
	v_exp_f32_e32 v4, v4                                       // 000000004414: 7E084104
	v_exp_f32_e32 v5, v5                                       // 000000004418: 7E0A4105
	v_exp_f32_e32 v6, v6                                       // 00000000441C: 7E0C4106
	v_exp_f32_e32 v7, v7                                       // 000000004420: 7E0E4107
	v_add_f32_e64 v4, v4, 1.0                                  // 000000004424: D1010004 0001E504
	v_add_f32_e64 v5, v5, 1.0                                  // 00000000442C: D1010005 0001E505
	v_add_f32_e64 v6, v6, 1.0                                  // 000000004434: D1010006 0001E506
	v_add_f32_e64 v7, v7, 1.0                                  // 00000000443C: D1010007 0001E507
	v_rcp_f32_e32 v4, v4                                       // 000000004444: 7E084504
	v_rcp_f32_e32 v5, v5                                       // 000000004448: 7E0A4505
	v_rcp_f32_e32 v6, v6                                       // 00000000444C: 7E0C4506
	v_rcp_f32_e32 v7, v7                                       // 000000004450: 7E0E4507
	v_mul_f32_e32 v76, v76, v4                                 // 000000004454: 0A98094C
	v_mul_f32_e32 v77, v77, v5                                 // 000000004458: 0A9A0B4D
	v_mul_f32_e32 v78, v78, v6                                 // 00000000445C: 0A9C0D4E
	v_mul_f32_e32 v79, v79, v7                                 // 000000004460: 0A9E0F4F
	v_mul_f32_e32 v76, v76, v116                               // 000000004464: 0A98E94C
	v_mul_f32_e32 v77, v77, v117                               // 000000004468: 0A9AEB4D
	v_mul_f32_e32 v78, v78, v118                               // 00000000446C: 0A9CED4E
	v_mul_f32_e32 v79, v79, v119                               // 000000004470: 0A9EEF4F
	v_pk_mul_f32 v[4:5], v[80:81], v[80:81]                    // 000000004474: D3B14004 1802A150
	v_pk_mul_f32 v[6:7], v[82:83], v[82:83]                    // 00000000447C: D3B14006 1802A552
	v_pk_fma_f32 v[4:5], v[4:5], s[78:79], v[8:9]              // 000000004484: D3B04004 1C209D04
	v_pk_fma_f32 v[6:7], v[6:7], s[78:79], v[8:9]              // 00000000448C: D3B04006 1C209D06
	v_pk_mul_f32 v[4:5], v[4:5], v[80:81]                      // 000000004494: D3B14004 1802A104
	v_pk_mul_f32 v[6:7], v[6:7], v[82:83]                      // 00000000449C: D3B14006 1802A506
	v_pk_mul_f32 v[4:5], v[4:5], s[60:61]                      // 0000000044A4: D3B14004 18007904
	v_pk_mul_f32 v[6:7], v[6:7], s[60:61]                      // 0000000044AC: D3B14006 18007906
	v_exp_f32_e32 v4, v4                                       // 0000000044B4: 7E084104
	v_exp_f32_e32 v5, v5                                       // 0000000044B8: 7E0A4105
	v_exp_f32_e32 v6, v6                                       // 0000000044BC: 7E0C4106
	v_exp_f32_e32 v7, v7                                       // 0000000044C0: 7E0E4107
	v_add_f32_e64 v4, v4, 1.0                                  // 0000000044C4: D1010004 0001E504
	v_add_f32_e64 v5, v5, 1.0                                  // 0000000044CC: D1010005 0001E505
	v_add_f32_e64 v6, v6, 1.0                                  // 0000000044D4: D1010006 0001E506
	v_add_f32_e64 v7, v7, 1.0                                  // 0000000044DC: D1010007 0001E507
	v_rcp_f32_e32 v4, v4                                       // 0000000044E4: 7E084504
	v_rcp_f32_e32 v5, v5                                       // 0000000044E8: 7E0A4505
	v_rcp_f32_e32 v6, v6                                       // 0000000044EC: 7E0C4506
	v_rcp_f32_e32 v7, v7                                       // 0000000044F0: 7E0E4507
	v_mul_f32_e32 v80, v80, v4                                 // 0000000044F4: 0AA00950
	v_mul_f32_e32 v81, v81, v5                                 // 0000000044F8: 0AA20B51
	v_mul_f32_e32 v82, v82, v6                                 // 0000000044FC: 0AA40D52
	v_mul_f32_e32 v83, v83, v7                                 // 000000004500: 0AA60F53
	v_mul_f32_e32 v80, v80, v120                               // 000000004504: 0AA0F150
	v_mul_f32_e32 v81, v81, v121                               // 000000004508: 0AA2F351
	v_mul_f32_e32 v82, v82, v122                               // 00000000450C: 0AA4F552
	v_mul_f32_e32 v83, v83, v123                               // 000000004510: 0AA6F753
	v_pk_mul_f32 v[4:5], v[84:85], v[84:85]                    // 000000004514: D3B14004 1802A954
	v_pk_mul_f32 v[6:7], v[86:87], v[86:87]                    // 00000000451C: D3B14006 1802AD56
	v_pk_fma_f32 v[4:5], v[4:5], s[78:79], v[8:9]              // 000000004524: D3B04004 1C209D04
	v_pk_fma_f32 v[6:7], v[6:7], s[78:79], v[8:9]              // 00000000452C: D3B04006 1C209D06
	v_pk_mul_f32 v[4:5], v[4:5], v[84:85]                      // 000000004534: D3B14004 1802A904
	v_pk_mul_f32 v[6:7], v[6:7], v[86:87]                      // 00000000453C: D3B14006 1802AD06
	v_pk_mul_f32 v[4:5], v[4:5], s[60:61]                      // 000000004544: D3B14004 18007904
	v_pk_mul_f32 v[6:7], v[6:7], s[60:61]                      // 00000000454C: D3B14006 18007906
	v_exp_f32_e32 v4, v4                                       // 000000004554: 7E084104
	v_exp_f32_e32 v5, v5                                       // 000000004558: 7E0A4105
	v_exp_f32_e32 v6, v6                                       // 00000000455C: 7E0C4106
	v_exp_f32_e32 v7, v7                                       // 000000004560: 7E0E4107
	v_add_f32_e64 v4, v4, 1.0                                  // 000000004564: D1010004 0001E504
	v_add_f32_e64 v5, v5, 1.0                                  // 00000000456C: D1010005 0001E505
	v_add_f32_e64 v6, v6, 1.0                                  // 000000004574: D1010006 0001E506
	v_add_f32_e64 v7, v7, 1.0                                  // 00000000457C: D1010007 0001E507
	v_rcp_f32_e32 v4, v4                                       // 000000004584: 7E084504
	v_rcp_f32_e32 v5, v5                                       // 000000004588: 7E0A4505
	v_rcp_f32_e32 v6, v6                                       // 00000000458C: 7E0C4506
	v_rcp_f32_e32 v7, v7                                       // 000000004590: 7E0E4507
	v_mul_f32_e32 v84, v84, v4                                 // 000000004594: 0AA80954
	v_mul_f32_e32 v85, v85, v5                                 // 000000004598: 0AAA0B55
	v_mul_f32_e32 v86, v86, v6                                 // 00000000459C: 0AAC0D56
	v_mul_f32_e32 v87, v87, v7                                 // 0000000045A0: 0AAE0F57
	v_mul_f32_e32 v84, v84, v124                               // 0000000045A4: 0AA8F954
	v_mul_f32_e32 v85, v85, v125                               // 0000000045A8: 0AAAFB55
	v_mul_f32_e32 v86, v86, v126                               // 0000000045AC: 0AACFD56
	v_mul_f32_e32 v87, v87, v127                               // 0000000045B0: 0AAEFF57
	v_pk_mul_f32 v[4:5], v[88:89], v[88:89]                    // 0000000045B4: D3B14004 1802B158
	v_pk_mul_f32 v[6:7], v[90:91], v[90:91]                    // 0000000045BC: D3B14006 1802B55A
	v_pk_fma_f32 v[4:5], v[4:5], s[78:79], v[8:9]              // 0000000045C4: D3B04004 1C209D04
	v_pk_fma_f32 v[6:7], v[6:7], s[78:79], v[8:9]              // 0000000045CC: D3B04006 1C209D06
	v_pk_mul_f32 v[4:5], v[4:5], v[88:89]                      // 0000000045D4: D3B14004 1802B104
	v_pk_mul_f32 v[6:7], v[6:7], v[90:91]                      // 0000000045DC: D3B14006 1802B506
	v_pk_mul_f32 v[4:5], v[4:5], s[60:61]                      // 0000000045E4: D3B14004 18007904
	v_pk_mul_f32 v[6:7], v[6:7], s[60:61]                      // 0000000045EC: D3B14006 18007906
	v_exp_f32_e32 v4, v4                                       // 0000000045F4: 7E084104
	v_exp_f32_e32 v5, v5                                       // 0000000045F8: 7E0A4105
	v_exp_f32_e32 v6, v6                                       // 0000000045FC: 7E0C4106
	v_exp_f32_e32 v7, v7                                       // 000000004600: 7E0E4107
	v_add_f32_e64 v4, v4, 1.0                                  // 000000004604: D1010004 0001E504
	v_add_f32_e64 v5, v5, 1.0                                  // 00000000460C: D1010005 0001E505
	v_add_f32_e64 v6, v6, 1.0                                  // 000000004614: D1010006 0001E506
	v_add_f32_e64 v7, v7, 1.0                                  // 00000000461C: D1010007 0001E507
	v_rcp_f32_e32 v4, v4                                       // 000000004624: 7E084504
	v_rcp_f32_e32 v5, v5                                       // 000000004628: 7E0A4505
	v_rcp_f32_e32 v6, v6                                       // 00000000462C: 7E0C4506
	v_rcp_f32_e32 v7, v7                                       // 000000004630: 7E0E4507
	v_mul_f32_e32 v88, v88, v4                                 // 000000004634: 0AB00958
	v_mul_f32_e32 v89, v89, v5                                 // 000000004638: 0AB20B59
	v_mul_f32_e32 v90, v90, v6                                 // 00000000463C: 0AB40D5A
	v_mul_f32_e32 v91, v91, v7                                 // 000000004640: 0AB60F5B
	v_mul_f32_e32 v88, v88, v128                               // 000000004644: 0AB10158
	v_mul_f32_e32 v89, v89, v129                               // 000000004648: 0AB30359
	v_mul_f32_e32 v90, v90, v130                               // 00000000464C: 0AB5055A
	v_mul_f32_e32 v91, v91, v131                               // 000000004650: 0AB7075B
	v_pk_mul_f32 v[4:5], v[92:93], v[92:93]                    // 000000004654: D3B14004 1802B95C
	v_pk_mul_f32 v[6:7], v[94:95], v[94:95]                    // 00000000465C: D3B14006 1802BD5E
	v_pk_fma_f32 v[4:5], v[4:5], s[78:79], v[8:9]              // 000000004664: D3B04004 1C209D04
	v_pk_fma_f32 v[6:7], v[6:7], s[78:79], v[8:9]              // 00000000466C: D3B04006 1C209D06
	v_pk_mul_f32 v[4:5], v[4:5], v[92:93]                      // 000000004674: D3B14004 1802B904
	v_pk_mul_f32 v[6:7], v[6:7], v[94:95]                      // 00000000467C: D3B14006 1802BD06
	v_pk_mul_f32 v[4:5], v[4:5], s[60:61]                      // 000000004684: D3B14004 18007904
	v_pk_mul_f32 v[6:7], v[6:7], s[60:61]                      // 00000000468C: D3B14006 18007906
	v_exp_f32_e32 v4, v4                                       // 000000004694: 7E084104
	v_exp_f32_e32 v5, v5                                       // 000000004698: 7E0A4105
	v_exp_f32_e32 v6, v6                                       // 00000000469C: 7E0C4106
	v_exp_f32_e32 v7, v7                                       // 0000000046A0: 7E0E4107
	v_add_f32_e64 v4, v4, 1.0                                  // 0000000046A4: D1010004 0001E504
	v_add_f32_e64 v5, v5, 1.0                                  // 0000000046AC: D1010005 0001E505
	v_add_f32_e64 v6, v6, 1.0                                  // 0000000046B4: D1010006 0001E506
	v_add_f32_e64 v7, v7, 1.0                                  // 0000000046BC: D1010007 0001E507
	v_rcp_f32_e32 v4, v4                                       // 0000000046C4: 7E084504
	v_rcp_f32_e32 v5, v5                                       // 0000000046C8: 7E0A4505
	v_rcp_f32_e32 v6, v6                                       // 0000000046CC: 7E0C4506
	v_rcp_f32_e32 v7, v7                                       // 0000000046D0: 7E0E4507
	v_mul_f32_e32 v92, v92, v4                                 // 0000000046D4: 0AB8095C
	v_mul_f32_e32 v93, v93, v5                                 // 0000000046D8: 0ABA0B5D
	v_mul_f32_e32 v94, v94, v6                                 // 0000000046DC: 0ABC0D5E
	v_mul_f32_e32 v95, v95, v7                                 // 0000000046E0: 0ABE0F5F
	v_mul_f32_e32 v92, v92, v132                               // 0000000046E4: 0AB9095C
	v_mul_f32_e32 v93, v93, v133                               // 0000000046E8: 0ABB0B5D
	v_mul_f32_e32 v94, v94, v134                               // 0000000046EC: 0ABD0D5E
	v_mul_f32_e32 v95, v95, v135                               // 0000000046F0: 0ABF0F5F
	v_pk_mul_f32 v[4:5], v[96:97], v[96:97]                    // 0000000046F4: D3B14004 1802C160
	v_pk_mul_f32 v[6:7], v[98:99], v[98:99]                    // 0000000046FC: D3B14006 1802C562
	v_pk_fma_f32 v[4:5], v[4:5], s[78:79], v[8:9]              // 000000004704: D3B04004 1C209D04
	v_pk_fma_f32 v[6:7], v[6:7], s[78:79], v[8:9]              // 00000000470C: D3B04006 1C209D06
	v_pk_mul_f32 v[4:5], v[4:5], v[96:97]                      // 000000004714: D3B14004 1802C104
	v_pk_mul_f32 v[6:7], v[6:7], v[98:99]                      // 00000000471C: D3B14006 1802C506
	v_pk_mul_f32 v[4:5], v[4:5], s[60:61]                      // 000000004724: D3B14004 18007904
	v_pk_mul_f32 v[6:7], v[6:7], s[60:61]                      // 00000000472C: D3B14006 18007906
	v_exp_f32_e32 v4, v4                                       // 000000004734: 7E084104
	v_exp_f32_e32 v5, v5                                       // 000000004738: 7E0A4105
	v_exp_f32_e32 v6, v6                                       // 00000000473C: 7E0C4106
	v_exp_f32_e32 v7, v7                                       // 000000004740: 7E0E4107
	v_add_f32_e64 v4, v4, 1.0                                  // 000000004744: D1010004 0001E504
	v_add_f32_e64 v5, v5, 1.0                                  // 00000000474C: D1010005 0001E505
	v_add_f32_e64 v6, v6, 1.0                                  // 000000004754: D1010006 0001E506
	v_add_f32_e64 v7, v7, 1.0                                  // 00000000475C: D1010007 0001E507
	v_rcp_f32_e32 v4, v4                                       // 000000004764: 7E084504
	v_rcp_f32_e32 v5, v5                                       // 000000004768: 7E0A4505
	v_rcp_f32_e32 v6, v6                                       // 00000000476C: 7E0C4506
	v_rcp_f32_e32 v7, v7                                       // 000000004770: 7E0E4507
	v_mul_f32_e32 v96, v96, v4                                 // 000000004774: 0AC00960
	v_mul_f32_e32 v97, v97, v5                                 // 000000004778: 0AC20B61
	v_mul_f32_e32 v98, v98, v6                                 // 00000000477C: 0AC40D62
	v_mul_f32_e32 v99, v99, v7                                 // 000000004780: 0AC60F63
	v_mul_f32_e32 v96, v96, v136                               // 000000004784: 0AC11160
	v_mul_f32_e32 v97, v97, v137                               // 000000004788: 0AC31361
	v_mul_f32_e32 v98, v98, v138                               // 00000000478C: 0AC51562
	v_mul_f32_e32 v99, v99, v139                               // 000000004790: 0AC71763
	s_branch label_08A6                                        // 000000004794: BF820140

0000000000004798 <label_0766>:
	v_mul_f32_e64 v4, -v60, s6                                 // 000000004798: D1050004 20000D3C
	v_mul_f32_e64 v5, -v61, s6                                 // 0000000047A0: D1050005 20000D3D
	v_mul_f32_e64 v6, -v62, s6                                 // 0000000047A8: D1050006 20000D3E
	v_mul_f32_e64 v7, -v63, s6                                 // 0000000047B0: D1050007 20000D3F
	v_exp_f32_e32 v4, v4                                       // 0000000047B8: 7E084104
	v_exp_f32_e32 v5, v5                                       // 0000000047BC: 7E0A4105
	v_exp_f32_e32 v6, v6                                       // 0000000047C0: 7E0C4106
	v_exp_f32_e32 v7, v7                                       // 0000000047C4: 7E0E4107
	v_add_f32_e64 v4, v4, 1.0                                  // 0000000047C8: D1010004 0001E504
	v_add_f32_e64 v5, v5, 1.0                                  // 0000000047D0: D1010005 0001E505
	v_add_f32_e64 v6, v6, 1.0                                  // 0000000047D8: D1010006 0001E506
	v_add_f32_e64 v7, v7, 1.0                                  // 0000000047E0: D1010007 0001E507
	v_rcp_f32_e32 v4, v4                                       // 0000000047E8: 7E084504
	v_rcp_f32_e32 v5, v5                                       // 0000000047EC: 7E0A4505
	v_rcp_f32_e32 v6, v6                                       // 0000000047F0: 7E0C4506
	v_rcp_f32_e32 v7, v7                                       // 0000000047F4: 7E0E4507
	v_mul_f32_e32 v60, v60, v4                                 // 0000000047F8: 0A78093C
	v_mul_f32_e32 v61, v61, v5                                 // 0000000047FC: 0A7A0B3D
	v_mul_f32_e32 v62, v62, v6                                 // 000000004800: 0A7C0D3E
	v_mul_f32_e32 v63, v63, v7                                 // 000000004804: 0A7E0F3F
	v_mul_f32_e32 v60, v60, v100                               // 000000004808: 0A78C93C
	v_mul_f32_e32 v61, v61, v101                               // 00000000480C: 0A7ACB3D
	v_mul_f32_e32 v62, v62, v102                               // 000000004810: 0A7CCD3E
	v_mul_f32_e32 v63, v63, v103                               // 000000004814: 0A7ECF3F
	v_mul_f32_e64 v4, -v64, s6                                 // 000000004818: D1050004 20000D40
	v_mul_f32_e64 v5, -v65, s6                                 // 000000004820: D1050005 20000D41
	v_mul_f32_e64 v6, -v66, s6                                 // 000000004828: D1050006 20000D42
	v_mul_f32_e64 v7, -v67, s6                                 // 000000004830: D1050007 20000D43
	v_exp_f32_e32 v4, v4                                       // 000000004838: 7E084104
	v_exp_f32_e32 v5, v5                                       // 00000000483C: 7E0A4105
	v_exp_f32_e32 v6, v6                                       // 000000004840: 7E0C4106
	v_exp_f32_e32 v7, v7                                       // 000000004844: 7E0E4107
	v_add_f32_e64 v4, v4, 1.0                                  // 000000004848: D1010004 0001E504
	v_add_f32_e64 v5, v5, 1.0                                  // 000000004850: D1010005 0001E505
	v_add_f32_e64 v6, v6, 1.0                                  // 000000004858: D1010006 0001E506
	v_add_f32_e64 v7, v7, 1.0                                  // 000000004860: D1010007 0001E507
	v_rcp_f32_e32 v4, v4                                       // 000000004868: 7E084504
	v_rcp_f32_e32 v5, v5                                       // 00000000486C: 7E0A4505
	v_rcp_f32_e32 v6, v6                                       // 000000004870: 7E0C4506
	v_rcp_f32_e32 v7, v7                                       // 000000004874: 7E0E4507
	v_mul_f32_e32 v64, v64, v4                                 // 000000004878: 0A800940
	v_mul_f32_e32 v65, v65, v5                                 // 00000000487C: 0A820B41
	v_mul_f32_e32 v66, v66, v6                                 // 000000004880: 0A840D42
	v_mul_f32_e32 v67, v67, v7                                 // 000000004884: 0A860F43
	v_mul_f32_e32 v64, v64, v104                               // 000000004888: 0A80D140
	v_mul_f32_e32 v65, v65, v105                               // 00000000488C: 0A82D341
	v_mul_f32_e32 v66, v66, v106                               // 000000004890: 0A84D542
	v_mul_f32_e32 v67, v67, v107                               // 000000004894: 0A86D743
	v_mul_f32_e64 v4, -v68, s6                                 // 000000004898: D1050004 20000D44
	v_mul_f32_e64 v5, -v69, s6                                 // 0000000048A0: D1050005 20000D45
	v_mul_f32_e64 v6, -v70, s6                                 // 0000000048A8: D1050006 20000D46
	v_mul_f32_e64 v7, -v71, s6                                 // 0000000048B0: D1050007 20000D47
	v_exp_f32_e32 v4, v4                                       // 0000000048B8: 7E084104
	v_exp_f32_e32 v5, v5                                       // 0000000048BC: 7E0A4105
	v_exp_f32_e32 v6, v6                                       // 0000000048C0: 7E0C4106
	v_exp_f32_e32 v7, v7                                       // 0000000048C4: 7E0E4107
	v_add_f32_e64 v4, v4, 1.0                                  // 0000000048C8: D1010004 0001E504
	v_add_f32_e64 v5, v5, 1.0                                  // 0000000048D0: D1010005 0001E505
	v_add_f32_e64 v6, v6, 1.0                                  // 0000000048D8: D1010006 0001E506
	v_add_f32_e64 v7, v7, 1.0                                  // 0000000048E0: D1010007 0001E507
	v_rcp_f32_e32 v4, v4                                       // 0000000048E8: 7E084504
	v_rcp_f32_e32 v5, v5                                       // 0000000048EC: 7E0A4505
	v_rcp_f32_e32 v6, v6                                       // 0000000048F0: 7E0C4506
	v_rcp_f32_e32 v7, v7                                       // 0000000048F4: 7E0E4507
	v_mul_f32_e32 v68, v68, v4                                 // 0000000048F8: 0A880944
	v_mul_f32_e32 v69, v69, v5                                 // 0000000048FC: 0A8A0B45
	v_mul_f32_e32 v70, v70, v6                                 // 000000004900: 0A8C0D46
	v_mul_f32_e32 v71, v71, v7                                 // 000000004904: 0A8E0F47
	v_mul_f32_e32 v68, v68, v108                               // 000000004908: 0A88D944
	v_mul_f32_e32 v69, v69, v109                               // 00000000490C: 0A8ADB45
	v_mul_f32_e32 v70, v70, v110                               // 000000004910: 0A8CDD46
	v_mul_f32_e32 v71, v71, v111                               // 000000004914: 0A8EDF47
	v_mul_f32_e64 v4, -v72, s6                                 // 000000004918: D1050004 20000D48
	v_mul_f32_e64 v5, -v73, s6                                 // 000000004920: D1050005 20000D49
	v_mul_f32_e64 v6, -v74, s6                                 // 000000004928: D1050006 20000D4A
	v_mul_f32_e64 v7, -v75, s6                                 // 000000004930: D1050007 20000D4B
	v_exp_f32_e32 v4, v4                                       // 000000004938: 7E084104
	v_exp_f32_e32 v5, v5                                       // 00000000493C: 7E0A4105
	v_exp_f32_e32 v6, v6                                       // 000000004940: 7E0C4106
	v_exp_f32_e32 v7, v7                                       // 000000004944: 7E0E4107
	v_add_f32_e64 v4, v4, 1.0                                  // 000000004948: D1010004 0001E504
	v_add_f32_e64 v5, v5, 1.0                                  // 000000004950: D1010005 0001E505
	v_add_f32_e64 v6, v6, 1.0                                  // 000000004958: D1010006 0001E506
	v_add_f32_e64 v7, v7, 1.0                                  // 000000004960: D1010007 0001E507
	v_rcp_f32_e32 v4, v4                                       // 000000004968: 7E084504
	v_rcp_f32_e32 v5, v5                                       // 00000000496C: 7E0A4505
	v_rcp_f32_e32 v6, v6                                       // 000000004970: 7E0C4506
	v_rcp_f32_e32 v7, v7                                       // 000000004974: 7E0E4507
	v_mul_f32_e32 v72, v72, v4                                 // 000000004978: 0A900948
	v_mul_f32_e32 v73, v73, v5                                 // 00000000497C: 0A920B49
	v_mul_f32_e32 v74, v74, v6                                 // 000000004980: 0A940D4A
	v_mul_f32_e32 v75, v75, v7                                 // 000000004984: 0A960F4B
	v_mul_f32_e32 v72, v72, v112                               // 000000004988: 0A90E148
	v_mul_f32_e32 v73, v73, v113                               // 00000000498C: 0A92E349
	v_mul_f32_e32 v74, v74, v114                               // 000000004990: 0A94E54A
	v_mul_f32_e32 v75, v75, v115                               // 000000004994: 0A96E74B
	v_mul_f32_e64 v4, -v76, s6                                 // 000000004998: D1050004 20000D4C
	v_mul_f32_e64 v5, -v77, s6                                 // 0000000049A0: D1050005 20000D4D
	v_mul_f32_e64 v6, -v78, s6                                 // 0000000049A8: D1050006 20000D4E
	v_mul_f32_e64 v7, -v79, s6                                 // 0000000049B0: D1050007 20000D4F
	v_exp_f32_e32 v4, v4                                       // 0000000049B8: 7E084104
	v_exp_f32_e32 v5, v5                                       // 0000000049BC: 7E0A4105
	v_exp_f32_e32 v6, v6                                       // 0000000049C0: 7E0C4106
	v_exp_f32_e32 v7, v7                                       // 0000000049C4: 7E0E4107
	v_add_f32_e64 v4, v4, 1.0                                  // 0000000049C8: D1010004 0001E504
	v_add_f32_e64 v5, v5, 1.0                                  // 0000000049D0: D1010005 0001E505
	v_add_f32_e64 v6, v6, 1.0                                  // 0000000049D8: D1010006 0001E506
	v_add_f32_e64 v7, v7, 1.0                                  // 0000000049E0: D1010007 0001E507
	v_rcp_f32_e32 v4, v4                                       // 0000000049E8: 7E084504
	v_rcp_f32_e32 v5, v5                                       // 0000000049EC: 7E0A4505
	v_rcp_f32_e32 v6, v6                                       // 0000000049F0: 7E0C4506
	v_rcp_f32_e32 v7, v7                                       // 0000000049F4: 7E0E4507
	v_mul_f32_e32 v76, v76, v4                                 // 0000000049F8: 0A98094C
	v_mul_f32_e32 v77, v77, v5                                 // 0000000049FC: 0A9A0B4D
	v_mul_f32_e32 v78, v78, v6                                 // 000000004A00: 0A9C0D4E
	v_mul_f32_e32 v79, v79, v7                                 // 000000004A04: 0A9E0F4F
	v_mul_f32_e32 v76, v76, v116                               // 000000004A08: 0A98E94C
	v_mul_f32_e32 v77, v77, v117                               // 000000004A0C: 0A9AEB4D
	v_mul_f32_e32 v78, v78, v118                               // 000000004A10: 0A9CED4E
	v_mul_f32_e32 v79, v79, v119                               // 000000004A14: 0A9EEF4F
	v_mul_f32_e64 v4, -v80, s6                                 // 000000004A18: D1050004 20000D50
	v_mul_f32_e64 v5, -v81, s6                                 // 000000004A20: D1050005 20000D51
	v_mul_f32_e64 v6, -v82, s6                                 // 000000004A28: D1050006 20000D52
	v_mul_f32_e64 v7, -v83, s6                                 // 000000004A30: D1050007 20000D53
	v_exp_f32_e32 v4, v4                                       // 000000004A38: 7E084104
	v_exp_f32_e32 v5, v5                                       // 000000004A3C: 7E0A4105
	v_exp_f32_e32 v6, v6                                       // 000000004A40: 7E0C4106
	v_exp_f32_e32 v7, v7                                       // 000000004A44: 7E0E4107
	v_add_f32_e64 v4, v4, 1.0                                  // 000000004A48: D1010004 0001E504
	v_add_f32_e64 v5, v5, 1.0                                  // 000000004A50: D1010005 0001E505
	v_add_f32_e64 v6, v6, 1.0                                  // 000000004A58: D1010006 0001E506
	v_add_f32_e64 v7, v7, 1.0                                  // 000000004A60: D1010007 0001E507
	v_rcp_f32_e32 v4, v4                                       // 000000004A68: 7E084504
	v_rcp_f32_e32 v5, v5                                       // 000000004A6C: 7E0A4505
	v_rcp_f32_e32 v6, v6                                       // 000000004A70: 7E0C4506
	v_rcp_f32_e32 v7, v7                                       // 000000004A74: 7E0E4507
	v_mul_f32_e32 v80, v80, v4                                 // 000000004A78: 0AA00950
	v_mul_f32_e32 v81, v81, v5                                 // 000000004A7C: 0AA20B51
	v_mul_f32_e32 v82, v82, v6                                 // 000000004A80: 0AA40D52
	v_mul_f32_e32 v83, v83, v7                                 // 000000004A84: 0AA60F53
	v_mul_f32_e32 v80, v80, v120                               // 000000004A88: 0AA0F150
	v_mul_f32_e32 v81, v81, v121                               // 000000004A8C: 0AA2F351
	v_mul_f32_e32 v82, v82, v122                               // 000000004A90: 0AA4F552
	v_mul_f32_e32 v83, v83, v123                               // 000000004A94: 0AA6F753
	v_mul_f32_e64 v4, -v84, s6                                 // 000000004A98: D1050004 20000D54
	v_mul_f32_e64 v5, -v85, s6                                 // 000000004AA0: D1050005 20000D55
	v_mul_f32_e64 v6, -v86, s6                                 // 000000004AA8: D1050006 20000D56
	v_mul_f32_e64 v7, -v87, s6                                 // 000000004AB0: D1050007 20000D57
	v_exp_f32_e32 v4, v4                                       // 000000004AB8: 7E084104
	v_exp_f32_e32 v5, v5                                       // 000000004ABC: 7E0A4105
	v_exp_f32_e32 v6, v6                                       // 000000004AC0: 7E0C4106
	v_exp_f32_e32 v7, v7                                       // 000000004AC4: 7E0E4107
	v_add_f32_e64 v4, v4, 1.0                                  // 000000004AC8: D1010004 0001E504
	v_add_f32_e64 v5, v5, 1.0                                  // 000000004AD0: D1010005 0001E505
	v_add_f32_e64 v6, v6, 1.0                                  // 000000004AD8: D1010006 0001E506
	v_add_f32_e64 v7, v7, 1.0                                  // 000000004AE0: D1010007 0001E507
	v_rcp_f32_e32 v4, v4                                       // 000000004AE8: 7E084504
	v_rcp_f32_e32 v5, v5                                       // 000000004AEC: 7E0A4505
	v_rcp_f32_e32 v6, v6                                       // 000000004AF0: 7E0C4506
	v_rcp_f32_e32 v7, v7                                       // 000000004AF4: 7E0E4507
	v_mul_f32_e32 v84, v84, v4                                 // 000000004AF8: 0AA80954
	v_mul_f32_e32 v85, v85, v5                                 // 000000004AFC: 0AAA0B55
	v_mul_f32_e32 v86, v86, v6                                 // 000000004B00: 0AAC0D56
	v_mul_f32_e32 v87, v87, v7                                 // 000000004B04: 0AAE0F57
	v_mul_f32_e32 v84, v84, v124                               // 000000004B08: 0AA8F954
	v_mul_f32_e32 v85, v85, v125                               // 000000004B0C: 0AAAFB55
	v_mul_f32_e32 v86, v86, v126                               // 000000004B10: 0AACFD56
	v_mul_f32_e32 v87, v87, v127                               // 000000004B14: 0AAEFF57
	v_mul_f32_e64 v4, -v88, s6                                 // 000000004B18: D1050004 20000D58
	v_mul_f32_e64 v5, -v89, s6                                 // 000000004B20: D1050005 20000D59
	v_mul_f32_e64 v6, -v90, s6                                 // 000000004B28: D1050006 20000D5A
	v_mul_f32_e64 v7, -v91, s6                                 // 000000004B30: D1050007 20000D5B
	v_exp_f32_e32 v4, v4                                       // 000000004B38: 7E084104
	v_exp_f32_e32 v5, v5                                       // 000000004B3C: 7E0A4105
	v_exp_f32_e32 v6, v6                                       // 000000004B40: 7E0C4106
	v_exp_f32_e32 v7, v7                                       // 000000004B44: 7E0E4107
	v_add_f32_e64 v4, v4, 1.0                                  // 000000004B48: D1010004 0001E504
	v_add_f32_e64 v5, v5, 1.0                                  // 000000004B50: D1010005 0001E505
	v_add_f32_e64 v6, v6, 1.0                                  // 000000004B58: D1010006 0001E506
	v_add_f32_e64 v7, v7, 1.0                                  // 000000004B60: D1010007 0001E507
	v_rcp_f32_e32 v4, v4                                       // 000000004B68: 7E084504
	v_rcp_f32_e32 v5, v5                                       // 000000004B6C: 7E0A4505
	v_rcp_f32_e32 v6, v6                                       // 000000004B70: 7E0C4506
	v_rcp_f32_e32 v7, v7                                       // 000000004B74: 7E0E4507
	v_mul_f32_e32 v88, v88, v4                                 // 000000004B78: 0AB00958
	v_mul_f32_e32 v89, v89, v5                                 // 000000004B7C: 0AB20B59
	v_mul_f32_e32 v90, v90, v6                                 // 000000004B80: 0AB40D5A
	v_mul_f32_e32 v91, v91, v7                                 // 000000004B84: 0AB60F5B
	v_mul_f32_e32 v88, v88, v128                               // 000000004B88: 0AB10158
	v_mul_f32_e32 v89, v89, v129                               // 000000004B8C: 0AB30359
	v_mul_f32_e32 v90, v90, v130                               // 000000004B90: 0AB5055A
	v_mul_f32_e32 v91, v91, v131                               // 000000004B94: 0AB7075B
	v_mul_f32_e64 v4, -v92, s6                                 // 000000004B98: D1050004 20000D5C
	v_mul_f32_e64 v5, -v93, s6                                 // 000000004BA0: D1050005 20000D5D
	v_mul_f32_e64 v6, -v94, s6                                 // 000000004BA8: D1050006 20000D5E
	v_mul_f32_e64 v7, -v95, s6                                 // 000000004BB0: D1050007 20000D5F
	v_exp_f32_e32 v4, v4                                       // 000000004BB8: 7E084104
	v_exp_f32_e32 v5, v5                                       // 000000004BBC: 7E0A4105
	v_exp_f32_e32 v6, v6                                       // 000000004BC0: 7E0C4106
	v_exp_f32_e32 v7, v7                                       // 000000004BC4: 7E0E4107
	v_add_f32_e64 v4, v4, 1.0                                  // 000000004BC8: D1010004 0001E504
	v_add_f32_e64 v5, v5, 1.0                                  // 000000004BD0: D1010005 0001E505
	v_add_f32_e64 v6, v6, 1.0                                  // 000000004BD8: D1010006 0001E506
	v_add_f32_e64 v7, v7, 1.0                                  // 000000004BE0: D1010007 0001E507
	v_rcp_f32_e32 v4, v4                                       // 000000004BE8: 7E084504
	v_rcp_f32_e32 v5, v5                                       // 000000004BEC: 7E0A4505
	v_rcp_f32_e32 v6, v6                                       // 000000004BF0: 7E0C4506
	v_rcp_f32_e32 v7, v7                                       // 000000004BF4: 7E0E4507
	v_mul_f32_e32 v92, v92, v4                                 // 000000004BF8: 0AB8095C
	v_mul_f32_e32 v93, v93, v5                                 // 000000004BFC: 0ABA0B5D
	v_mul_f32_e32 v94, v94, v6                                 // 000000004C00: 0ABC0D5E
	v_mul_f32_e32 v95, v95, v7                                 // 000000004C04: 0ABE0F5F
	v_mul_f32_e32 v92, v92, v132                               // 000000004C08: 0AB9095C
	v_mul_f32_e32 v93, v93, v133                               // 000000004C0C: 0ABB0B5D
	v_mul_f32_e32 v94, v94, v134                               // 000000004C10: 0ABD0D5E
	v_mul_f32_e32 v95, v95, v135                               // 000000004C14: 0ABF0F5F
	v_mul_f32_e64 v4, -v96, s6                                 // 000000004C18: D1050004 20000D60
	v_mul_f32_e64 v5, -v97, s6                                 // 000000004C20: D1050005 20000D61
	v_mul_f32_e64 v6, -v98, s6                                 // 000000004C28: D1050006 20000D62
	v_mul_f32_e64 v7, -v99, s6                                 // 000000004C30: D1050007 20000D63
	v_exp_f32_e32 v4, v4                                       // 000000004C38: 7E084104
	v_exp_f32_e32 v5, v5                                       // 000000004C3C: 7E0A4105
	v_exp_f32_e32 v6, v6                                       // 000000004C40: 7E0C4106
	v_exp_f32_e32 v7, v7                                       // 000000004C44: 7E0E4107
	v_add_f32_e64 v4, v4, 1.0                                  // 000000004C48: D1010004 0001E504
	v_add_f32_e64 v5, v5, 1.0                                  // 000000004C50: D1010005 0001E505
	v_add_f32_e64 v6, v6, 1.0                                  // 000000004C58: D1010006 0001E506
	v_add_f32_e64 v7, v7, 1.0                                  // 000000004C60: D1010007 0001E507
	v_rcp_f32_e32 v4, v4                                       // 000000004C68: 7E084504
	v_rcp_f32_e32 v5, v5                                       // 000000004C6C: 7E0A4505
	v_rcp_f32_e32 v6, v6                                       // 000000004C70: 7E0C4506
	v_rcp_f32_e32 v7, v7                                       // 000000004C74: 7E0E4507
	v_mul_f32_e32 v96, v96, v4                                 // 000000004C78: 0AC00960
	v_mul_f32_e32 v97, v97, v5                                 // 000000004C7C: 0AC20B61
	v_mul_f32_e32 v98, v98, v6                                 // 000000004C80: 0AC40D62
	v_mul_f32_e32 v99, v99, v7                                 // 000000004C84: 0AC60F63
	v_mul_f32_e32 v96, v96, v136                               // 000000004C88: 0AC11160
	v_mul_f32_e32 v97, v97, v137                               // 000000004C8C: 0AC31361
	v_mul_f32_e32 v98, v98, v138                               // 000000004C90: 0AC51562
	v_mul_f32_e32 v99, v99, v139                               // 000000004C94: 0AC71763

0000000000004c98 <label_08A6>:
	v_cmp_u_f32_e64 s[46:47], v60, v60                         // 000000004C98: D048002E 0002793C
	v_add3_u32 v16, v60, v19, 1                                // 000000004CA0: D1FF0010 0206273C
	v_cndmask_b32_e64 v4, v16, v18, s[46:47]                   // 000000004CA8: D1000004 00BA2510
	v_cmp_u_f32_e64 s[46:47], v61, v61                         // 000000004CB0: D048002E 00027B3D
	v_add3_u32 v16, v61, v19, 1                                // 000000004CB8: D1FF0010 0206273D
	v_cndmask_b32_e64 v5, v16, v18, s[46:47]                   // 000000004CC0: D1000005 00BA2510
	v_perm_b32 v60, v5, v4, s52                                // 000000004CC8: D1ED003C 00D20905
	v_cmp_u_f32_e64 s[46:47], v62, v62                         // 000000004CD0: D048002E 00027D3E
	v_add3_u32 v16, v62, v19, 1                                // 000000004CD8: D1FF0010 0206273E
	v_cndmask_b32_e64 v4, v16, v18, s[46:47]                   // 000000004CE0: D1000004 00BA2510
	v_cmp_u_f32_e64 s[46:47], v63, v63                         // 000000004CE8: D048002E 00027F3F
	v_add3_u32 v16, v63, v19, 1                                // 000000004CF0: D1FF0010 0206273F
	v_cndmask_b32_e64 v5, v16, v18, s[46:47]                   // 000000004CF8: D1000005 00BA2510
	v_perm_b32 v61, v5, v4, s52                                // 000000004D00: D1ED003D 00D20905
	v_cmp_u_f32_e64 s[46:47], v64, v64                         // 000000004D08: D048002E 00028140
	v_add3_u32 v16, v64, v19, 1                                // 000000004D10: D1FF0010 02062740
	v_cndmask_b32_e64 v4, v16, v18, s[46:47]                   // 000000004D18: D1000004 00BA2510
	v_cmp_u_f32_e64 s[46:47], v65, v65                         // 000000004D20: D048002E 00028341
	v_add3_u32 v16, v65, v19, 1                                // 000000004D28: D1FF0010 02062741
	v_cndmask_b32_e64 v5, v16, v18, s[46:47]                   // 000000004D30: D1000005 00BA2510
	v_perm_b32 v62, v5, v4, s52                                // 000000004D38: D1ED003E 00D20905
	v_cmp_u_f32_e64 s[46:47], v66, v66                         // 000000004D40: D048002E 00028542
	v_add3_u32 v16, v66, v19, 1                                // 000000004D48: D1FF0010 02062742
	v_cndmask_b32_e64 v4, v16, v18, s[46:47]                   // 000000004D50: D1000004 00BA2510
	v_cmp_u_f32_e64 s[46:47], v67, v67                         // 000000004D58: D048002E 00028743
	v_add3_u32 v16, v67, v19, 1                                // 000000004D60: D1FF0010 02062743
	v_cndmask_b32_e64 v5, v16, v18, s[46:47]                   // 000000004D68: D1000005 00BA2510
	v_perm_b32 v63, v5, v4, s52                                // 000000004D70: D1ED003F 00D20905
	v_cmp_u_f32_e64 s[46:47], v68, v68                         // 000000004D78: D048002E 00028944
	v_add3_u32 v16, v68, v19, 1                                // 000000004D80: D1FF0010 02062744
	v_cndmask_b32_e64 v4, v16, v18, s[46:47]                   // 000000004D88: D1000004 00BA2510
	v_cmp_u_f32_e64 s[46:47], v69, v69                         // 000000004D90: D048002E 00028B45
	v_add3_u32 v16, v69, v19, 1                                // 000000004D98: D1FF0010 02062745
	v_cndmask_b32_e64 v5, v16, v18, s[46:47]                   // 000000004DA0: D1000005 00BA2510
	v_perm_b32 v64, v5, v4, s52                                // 000000004DA8: D1ED0040 00D20905
	v_cmp_u_f32_e64 s[46:47], v70, v70                         // 000000004DB0: D048002E 00028D46
	v_add3_u32 v16, v70, v19, 1                                // 000000004DB8: D1FF0010 02062746
	v_cndmask_b32_e64 v4, v16, v18, s[46:47]                   // 000000004DC0: D1000004 00BA2510
	v_cmp_u_f32_e64 s[46:47], v71, v71                         // 000000004DC8: D048002E 00028F47
	v_add3_u32 v16, v71, v19, 1                                // 000000004DD0: D1FF0010 02062747
	v_cndmask_b32_e64 v5, v16, v18, s[46:47]                   // 000000004DD8: D1000005 00BA2510
	v_perm_b32 v65, v5, v4, s52                                // 000000004DE0: D1ED0041 00D20905
	v_cmp_u_f32_e64 s[46:47], v72, v72                         // 000000004DE8: D048002E 00029148
	v_add3_u32 v16, v72, v19, 1                                // 000000004DF0: D1FF0010 02062748
	v_cndmask_b32_e64 v4, v16, v18, s[46:47]                   // 000000004DF8: D1000004 00BA2510
	v_cmp_u_f32_e64 s[46:47], v73, v73                         // 000000004E00: D048002E 00029349
	v_add3_u32 v16, v73, v19, 1                                // 000000004E08: D1FF0010 02062749
	v_cndmask_b32_e64 v5, v16, v18, s[46:47]                   // 000000004E10: D1000005 00BA2510
	v_perm_b32 v66, v5, v4, s52                                // 000000004E18: D1ED0042 00D20905
	v_cmp_u_f32_e64 s[46:47], v74, v74                         // 000000004E20: D048002E 0002954A
	v_add3_u32 v16, v74, v19, 1                                // 000000004E28: D1FF0010 0206274A
	v_cndmask_b32_e64 v4, v16, v18, s[46:47]                   // 000000004E30: D1000004 00BA2510
	v_cmp_u_f32_e64 s[46:47], v75, v75                         // 000000004E38: D048002E 0002974B
	v_add3_u32 v16, v75, v19, 1                                // 000000004E40: D1FF0010 0206274B
	v_cndmask_b32_e64 v5, v16, v18, s[46:47]                   // 000000004E48: D1000005 00BA2510
	v_perm_b32 v67, v5, v4, s52                                // 000000004E50: D1ED0043 00D20905
	v_cmp_u_f32_e64 s[46:47], v76, v76                         // 000000004E58: D048002E 0002994C
	v_add3_u32 v16, v76, v19, 1                                // 000000004E60: D1FF0010 0206274C
	v_cndmask_b32_e64 v4, v16, v18, s[46:47]                   // 000000004E68: D1000004 00BA2510
	v_cmp_u_f32_e64 s[46:47], v77, v77                         // 000000004E70: D048002E 00029B4D
	v_add3_u32 v16, v77, v19, 1                                // 000000004E78: D1FF0010 0206274D
	v_cndmask_b32_e64 v5, v16, v18, s[46:47]                   // 000000004E80: D1000005 00BA2510
	v_perm_b32 v68, v5, v4, s52                                // 000000004E88: D1ED0044 00D20905
	v_cmp_u_f32_e64 s[46:47], v78, v78                         // 000000004E90: D048002E 00029D4E
	v_add3_u32 v16, v78, v19, 1                                // 000000004E98: D1FF0010 0206274E
	v_cndmask_b32_e64 v4, v16, v18, s[46:47]                   // 000000004EA0: D1000004 00BA2510
	v_cmp_u_f32_e64 s[46:47], v79, v79                         // 000000004EA8: D048002E 00029F4F
	v_add3_u32 v16, v79, v19, 1                                // 000000004EB0: D1FF0010 0206274F
	v_cndmask_b32_e64 v5, v16, v18, s[46:47]                   // 000000004EB8: D1000005 00BA2510
	v_perm_b32 v69, v5, v4, s52                                // 000000004EC0: D1ED0045 00D20905
	v_cmp_u_f32_e64 s[46:47], v80, v80                         // 000000004EC8: D048002E 0002A150
	v_add3_u32 v16, v80, v19, 1                                // 000000004ED0: D1FF0010 02062750
	v_cndmask_b32_e64 v4, v16, v18, s[46:47]                   // 000000004ED8: D1000004 00BA2510
	v_cmp_u_f32_e64 s[46:47], v81, v81                         // 000000004EE0: D048002E 0002A351
	v_add3_u32 v16, v81, v19, 1                                // 000000004EE8: D1FF0010 02062751
	v_cndmask_b32_e64 v5, v16, v18, s[46:47]                   // 000000004EF0: D1000005 00BA2510
	v_perm_b32 v70, v5, v4, s52                                // 000000004EF8: D1ED0046 00D20905
	v_cmp_u_f32_e64 s[46:47], v82, v82                         // 000000004F00: D048002E 0002A552
	v_add3_u32 v16, v82, v19, 1                                // 000000004F08: D1FF0010 02062752
	v_cndmask_b32_e64 v4, v16, v18, s[46:47]                   // 000000004F10: D1000004 00BA2510
	v_cmp_u_f32_e64 s[46:47], v83, v83                         // 000000004F18: D048002E 0002A753
	v_add3_u32 v16, v83, v19, 1                                // 000000004F20: D1FF0010 02062753
	v_cndmask_b32_e64 v5, v16, v18, s[46:47]                   // 000000004F28: D1000005 00BA2510
	v_perm_b32 v71, v5, v4, s52                                // 000000004F30: D1ED0047 00D20905
	v_cmp_u_f32_e64 s[46:47], v84, v84                         // 000000004F38: D048002E 0002A954
	v_add3_u32 v16, v84, v19, 1                                // 000000004F40: D1FF0010 02062754
	v_cndmask_b32_e64 v4, v16, v18, s[46:47]                   // 000000004F48: D1000004 00BA2510
	v_cmp_u_f32_e64 s[46:47], v85, v85                         // 000000004F50: D048002E 0002AB55
	v_add3_u32 v16, v85, v19, 1                                // 000000004F58: D1FF0010 02062755
	v_cndmask_b32_e64 v5, v16, v18, s[46:47]                   // 000000004F60: D1000005 00BA2510
	v_perm_b32 v72, v5, v4, s52                                // 000000004F68: D1ED0048 00D20905
	v_cmp_u_f32_e64 s[46:47], v86, v86                         // 000000004F70: D048002E 0002AD56
	v_add3_u32 v16, v86, v19, 1                                // 000000004F78: D1FF0010 02062756
	v_cndmask_b32_e64 v4, v16, v18, s[46:47]                   // 000000004F80: D1000004 00BA2510
	v_cmp_u_f32_e64 s[46:47], v87, v87                         // 000000004F88: D048002E 0002AF57
	v_add3_u32 v16, v87, v19, 1                                // 000000004F90: D1FF0010 02062757
	v_cndmask_b32_e64 v5, v16, v18, s[46:47]                   // 000000004F98: D1000005 00BA2510
	v_perm_b32 v73, v5, v4, s52                                // 000000004FA0: D1ED0049 00D20905
	v_cmp_u_f32_e64 s[46:47], v88, v88                         // 000000004FA8: D048002E 0002B158
	v_add3_u32 v16, v88, v19, 1                                // 000000004FB0: D1FF0010 02062758
	v_cndmask_b32_e64 v4, v16, v18, s[46:47]                   // 000000004FB8: D1000004 00BA2510
	v_cmp_u_f32_e64 s[46:47], v89, v89                         // 000000004FC0: D048002E 0002B359
	v_add3_u32 v16, v89, v19, 1                                // 000000004FC8: D1FF0010 02062759
	v_cndmask_b32_e64 v5, v16, v18, s[46:47]                   // 000000004FD0: D1000005 00BA2510
	v_perm_b32 v74, v5, v4, s52                                // 000000004FD8: D1ED004A 00D20905
	v_cmp_u_f32_e64 s[46:47], v90, v90                         // 000000004FE0: D048002E 0002B55A
	v_add3_u32 v16, v90, v19, 1                                // 000000004FE8: D1FF0010 0206275A
	v_cndmask_b32_e64 v4, v16, v18, s[46:47]                   // 000000004FF0: D1000004 00BA2510
	v_cmp_u_f32_e64 s[46:47], v91, v91                         // 000000004FF8: D048002E 0002B75B
	v_add3_u32 v16, v91, v19, 1                                // 000000005000: D1FF0010 0206275B
	v_cndmask_b32_e64 v5, v16, v18, s[46:47]                   // 000000005008: D1000005 00BA2510
	v_perm_b32 v75, v5, v4, s52                                // 000000005010: D1ED004B 00D20905
	v_cmp_u_f32_e64 s[46:47], v92, v92                         // 000000005018: D048002E 0002B95C
	v_add3_u32 v16, v92, v19, 1                                // 000000005020: D1FF0010 0206275C
	v_cndmask_b32_e64 v4, v16, v18, s[46:47]                   // 000000005028: D1000004 00BA2510
	v_cmp_u_f32_e64 s[46:47], v93, v93                         // 000000005030: D048002E 0002BB5D
	v_add3_u32 v16, v93, v19, 1                                // 000000005038: D1FF0010 0206275D
	v_cndmask_b32_e64 v5, v16, v18, s[46:47]                   // 000000005040: D1000005 00BA2510
	v_perm_b32 v76, v5, v4, s52                                // 000000005048: D1ED004C 00D20905
	v_cmp_u_f32_e64 s[46:47], v94, v94                         // 000000005050: D048002E 0002BD5E
	v_add3_u32 v16, v94, v19, 1                                // 000000005058: D1FF0010 0206275E
	v_cndmask_b32_e64 v4, v16, v18, s[46:47]                   // 000000005060: D1000004 00BA2510
	v_cmp_u_f32_e64 s[46:47], v95, v95                         // 000000005068: D048002E 0002BF5F
	v_add3_u32 v16, v95, v19, 1                                // 000000005070: D1FF0010 0206275F
	v_cndmask_b32_e64 v5, v16, v18, s[46:47]                   // 000000005078: D1000005 00BA2510
	v_perm_b32 v77, v5, v4, s52                                // 000000005080: D1ED004D 00D20905
	v_cmp_u_f32_e64 s[46:47], v96, v96                         // 000000005088: D048002E 0002C160
	v_add3_u32 v16, v96, v19, 1                                // 000000005090: D1FF0010 02062760
	v_cndmask_b32_e64 v4, v16, v18, s[46:47]                   // 000000005098: D1000004 00BA2510
	v_cmp_u_f32_e64 s[46:47], v97, v97                         // 0000000050A0: D048002E 0002C361
	v_add3_u32 v16, v97, v19, 1                                // 0000000050A8: D1FF0010 02062761
	v_cndmask_b32_e64 v5, v16, v18, s[46:47]                   // 0000000050B0: D1000005 00BA2510
	v_perm_b32 v78, v5, v4, s52                                // 0000000050B8: D1ED004E 00D20905
	v_cmp_u_f32_e64 s[46:47], v98, v98                         // 0000000050C0: D048002E 0002C562
	v_add3_u32 v16, v98, v19, 1                                // 0000000050C8: D1FF0010 02062762
	v_cndmask_b32_e64 v4, v16, v18, s[46:47]                   // 0000000050D0: D1000004 00BA2510
	v_cmp_u_f32_e64 s[46:47], v99, v99                         // 0000000050D8: D048002E 0002C763
	v_add3_u32 v16, v99, v19, 1                                // 0000000050E0: D1FF0010 02062763
	v_cndmask_b32_e64 v5, v16, v18, s[46:47]                   // 0000000050E8: D1000005 00BA2510
	v_perm_b32 v79, v5, v4, s52                                // 0000000050F0: D1ED004F 00D20905
	ds_write_b64 v20, v[60:61]                                 // 0000000050F8: D89A0000 00003C14
	ds_write_b64 v20, v[62:63] offset:4352                     // 000000005100: D89A1100 00003E14
	ds_write_b64 v20, v[64:65] offset:8704                     // 000000005108: D89A2200 00004014
	ds_write_b64 v20, v[66:67] offset:13056                    // 000000005110: D89A3300 00004214
	ds_write_b64 v20, v[68:69] offset:17408                    // 000000005118: D89A4400 00004414
	ds_write_b64 v20, v[70:71] offset:2176                     // 000000005120: D89A0880 00004614
	ds_write_b64 v20, v[72:73] offset:6528                     // 000000005128: D89A1980 00004814
	ds_write_b64 v20, v[74:75] offset:10880                    // 000000005130: D89A2A80 00004A14
	ds_write_b64 v20, v[76:77] offset:15232                    // 000000005138: D89A3B80 00004C14
	ds_write_b64 v20, v[78:79] offset:19584                    // 000000005140: D89A4C80 00004E14
	v_lshrrev_b32_e32 v4, 5, v0                                // 000000005148: 20080085
	v_xor_b32_e32 v5, 1, v4                                    // 00000000514C: 2A0A0881
	s_mul_i32 s60, s65, 2                                      // 000000005150: 923C8241
	s_cmp_eq_u32 s88, 0                                        // 000000005154: BF068058
	s_cselect_b32 s61, 1, 4                                    // 000000005158: 853D8481
	s_mul_i32 s60, s61, s60                                    // 00000000515C: 923C3C3D
	v_readlane_b32 s82, v3, 0                                  // 000000005160: D2890052 00010103
	s_lshr_b32 s61, s82, 24                                    // 000000005168: 8F3D9852
	s_and_b32 s82, s82, 0xffffff                               // 00000000516C: 8652FF52 00FFFFFF
	s_mul_i32 s82, s82, s71                                    // 000000005174: 92524752
	s_mul_i32 s61, s60, s61                                    // 000000005178: 923D3D3C
	s_add_u32 s82, s82, s61                                    // 00000000517C: 80523D52
	v_mul_lo_u32 v6, v5, s82                                   // 000000005180: D2850006 0000A505
	v_readlane_b32 s82, v3, 1                                  // 000000005188: D2890052 00010303
	s_lshr_b32 s61, s82, 24                                    // 000000005190: 8F3D9852
	s_and_b32 s82, s82, 0xffffff                               // 000000005194: 8652FF52 00FFFFFF
	s_mul_i32 s82, s82, s71                                    // 00000000519C: 92524752
	s_mul_i32 s61, s60, s61                                    // 0000000051A0: 923D3D3C
	s_add_u32 s82, s82, s61                                    // 0000000051A4: 80523D52
	v_mul_lo_u32 v7, v4, s82                                   // 0000000051A8: D2850007 0000A504
	v_add_u32_e32 v48, v6, v7                                  // 0000000051B0: 68600F06
	v_readlane_b32 s82, v3, 2                                  // 0000000051B4: D2890052 00010503
	s_lshr_b32 s61, s82, 24                                    // 0000000051BC: 8F3D9852
	s_and_b32 s82, s82, 0xffffff                               // 0000000051C0: 8652FF52 00FFFFFF
	s_mul_i32 s82, s82, s71                                    // 0000000051C8: 92524752
	s_mul_i32 s61, s60, s61                                    // 0000000051CC: 923D3D3C
	s_add_u32 s82, s82, s61                                    // 0000000051D0: 80523D52
	v_mul_lo_u32 v6, v5, s82                                   // 0000000051D4: D2850006 0000A505
	v_readlane_b32 s82, v3, 3                                  // 0000000051DC: D2890052 00010703
	s_lshr_b32 s61, s82, 24                                    // 0000000051E4: 8F3D9852
	s_and_b32 s82, s82, 0xffffff                               // 0000000051E8: 8652FF52 00FFFFFF
	s_mul_i32 s82, s82, s71                                    // 0000000051F0: 92524752
	s_mul_i32 s61, s60, s61                                    // 0000000051F4: 923D3D3C
	s_add_u32 s82, s82, s61                                    // 0000000051F8: 80523D52
	v_mul_lo_u32 v7, v4, s82                                   // 0000000051FC: D2850007 0000A504
	v_add_u32_e32 v49, v6, v7                                  // 000000005204: 68620F06
	v_readlane_b32 s82, v3, 4                                  // 000000005208: D2890052 00010903
	s_lshr_b32 s61, s82, 24                                    // 000000005210: 8F3D9852
	s_and_b32 s82, s82, 0xffffff                               // 000000005214: 8652FF52 00FFFFFF
	s_mul_i32 s82, s82, s71                                    // 00000000521C: 92524752
	s_mul_i32 s61, s60, s61                                    // 000000005220: 923D3D3C
	s_add_u32 s82, s82, s61                                    // 000000005224: 80523D52
	v_mul_lo_u32 v6, v5, s82                                   // 000000005228: D2850006 0000A505
	v_readlane_b32 s82, v3, 5                                  // 000000005230: D2890052 00010B03
	s_lshr_b32 s61, s82, 24                                    // 000000005238: 8F3D9852
	s_and_b32 s82, s82, 0xffffff                               // 00000000523C: 8652FF52 00FFFFFF
	s_mul_i32 s82, s82, s71                                    // 000000005244: 92524752
	s_mul_i32 s61, s60, s61                                    // 000000005248: 923D3D3C
	s_add_u32 s82, s82, s61                                    // 00000000524C: 80523D52
	v_mul_lo_u32 v7, v4, s82                                   // 000000005250: D2850007 0000A504
	v_add_u32_e32 v50, v6, v7                                  // 000000005258: 68640F06
	v_readlane_b32 s82, v3, 6                                  // 00000000525C: D2890052 00010D03
	s_lshr_b32 s61, s82, 24                                    // 000000005264: 8F3D9852
	s_and_b32 s82, s82, 0xffffff                               // 000000005268: 8652FF52 00FFFFFF
	s_mul_i32 s82, s82, s71                                    // 000000005270: 92524752
	s_mul_i32 s61, s60, s61                                    // 000000005274: 923D3D3C
	s_add_u32 s82, s82, s61                                    // 000000005278: 80523D52
	v_mul_lo_u32 v6, v5, s82                                   // 00000000527C: D2850006 0000A505
	v_readlane_b32 s82, v3, 7                                  // 000000005284: D2890052 00010F03
	s_lshr_b32 s61, s82, 24                                    // 00000000528C: 8F3D9852
	s_and_b32 s82, s82, 0xffffff                               // 000000005290: 8652FF52 00FFFFFF
	s_mul_i32 s82, s82, s71                                    // 000000005298: 92524752
	s_mul_i32 s61, s60, s61                                    // 00000000529C: 923D3D3C
	s_add_u32 s82, s82, s61                                    // 0000000052A0: 80523D52
	v_mul_lo_u32 v7, v4, s82                                   // 0000000052A4: D2850007 0000A504
	v_add_u32_e32 v51, v6, v7                                  // 0000000052AC: 68660F06
	v_readlane_b32 s82, v3, 8                                  // 0000000052B0: D2890052 00011103
	s_lshr_b32 s61, s82, 24                                    // 0000000052B8: 8F3D9852
	s_and_b32 s82, s82, 0xffffff                               // 0000000052BC: 8652FF52 00FFFFFF
	s_mul_i32 s82, s82, s71                                    // 0000000052C4: 92524752
	s_mul_i32 s61, s60, s61                                    // 0000000052C8: 923D3D3C
	s_add_u32 s82, s82, s61                                    // 0000000052CC: 80523D52
	v_mul_lo_u32 v6, v5, s82                                   // 0000000052D0: D2850006 0000A505
	v_readlane_b32 s82, v3, 9                                  // 0000000052D8: D2890052 00011303
	s_lshr_b32 s61, s82, 24                                    // 0000000052E0: 8F3D9852
	s_and_b32 s82, s82, 0xffffff                               // 0000000052E4: 8652FF52 00FFFFFF
	s_mul_i32 s82, s82, s71                                    // 0000000052EC: 92524752
	s_mul_i32 s61, s60, s61                                    // 0000000052F0: 923D3D3C
	s_add_u32 s82, s82, s61                                    // 0000000052F4: 80523D52
	v_mul_lo_u32 v7, v4, s82                                   // 0000000052F8: D2850007 0000A504
	v_add_u32_e32 v52, v6, v7                                  // 000000005300: 68680F06
	v_readlane_b32 s82, v3, 10                                 // 000000005304: D2890052 00011503
	s_lshr_b32 s61, s82, 24                                    // 00000000530C: 8F3D9852
	s_and_b32 s82, s82, 0xffffff                               // 000000005310: 8652FF52 00FFFFFF
	s_mul_i32 s82, s82, s71                                    // 000000005318: 92524752
	s_mul_i32 s61, s60, s61                                    // 00000000531C: 923D3D3C
	s_add_u32 s82, s82, s61                                    // 000000005320: 80523D52
	v_mul_lo_u32 v6, v5, s82                                   // 000000005324: D2850006 0000A505
	v_readlane_b32 s82, v3, 11                                 // 00000000532C: D2890052 00011703
	s_lshr_b32 s61, s82, 24                                    // 000000005334: 8F3D9852
	s_and_b32 s82, s82, 0xffffff                               // 000000005338: 8652FF52 00FFFFFF
	s_mul_i32 s82, s82, s71                                    // 000000005340: 92524752
	s_mul_i32 s61, s60, s61                                    // 000000005344: 923D3D3C
	s_add_u32 s82, s82, s61                                    // 000000005348: 80523D52
	v_mul_lo_u32 v7, v4, s82                                   // 00000000534C: D2850007 0000A504
	v_add_u32_e32 v53, v6, v7                                  // 000000005354: 686A0F06
	v_readlane_b32 s82, v3, 12                                 // 000000005358: D2890052 00011903
	s_lshr_b32 s61, s82, 24                                    // 000000005360: 8F3D9852
	s_and_b32 s82, s82, 0xffffff                               // 000000005364: 8652FF52 00FFFFFF
	s_mul_i32 s82, s82, s71                                    // 00000000536C: 92524752
	s_mul_i32 s61, s60, s61                                    // 000000005370: 923D3D3C
	s_add_u32 s82, s82, s61                                    // 000000005374: 80523D52
	v_mul_lo_u32 v6, v5, s82                                   // 000000005378: D2850006 0000A505
	v_readlane_b32 s82, v3, 13                                 // 000000005380: D2890052 00011B03
	s_lshr_b32 s61, s82, 24                                    // 000000005388: 8F3D9852
	s_and_b32 s82, s82, 0xffffff                               // 00000000538C: 8652FF52 00FFFFFF
	s_mul_i32 s82, s82, s71                                    // 000000005394: 92524752
	s_mul_i32 s61, s60, s61                                    // 000000005398: 923D3D3C
	s_add_u32 s82, s82, s61                                    // 00000000539C: 80523D52
	v_mul_lo_u32 v7, v4, s82                                   // 0000000053A0: D2850007 0000A504
	v_add_u32_e32 v54, v6, v7                                  // 0000000053A8: 686C0F06
	v_readlane_b32 s82, v3, 14                                 // 0000000053AC: D2890052 00011D03
	s_lshr_b32 s61, s82, 24                                    // 0000000053B4: 8F3D9852
	s_and_b32 s82, s82, 0xffffff                               // 0000000053B8: 8652FF52 00FFFFFF
	s_mul_i32 s82, s82, s71                                    // 0000000053C0: 92524752
	s_mul_i32 s61, s60, s61                                    // 0000000053C4: 923D3D3C
	s_add_u32 s82, s82, s61                                    // 0000000053C8: 80523D52
	v_mul_lo_u32 v6, v5, s82                                   // 0000000053CC: D2850006 0000A505
	v_readlane_b32 s82, v3, 15                                 // 0000000053D4: D2890052 00011F03
	s_lshr_b32 s61, s82, 24                                    // 0000000053DC: 8F3D9852
	s_and_b32 s82, s82, 0xffffff                               // 0000000053E0: 8652FF52 00FFFFFF
	s_mul_i32 s82, s82, s71                                    // 0000000053E8: 92524752
	s_mul_i32 s61, s60, s61                                    // 0000000053EC: 923D3D3C
	s_add_u32 s82, s82, s61                                    // 0000000053F0: 80523D52
	v_mul_lo_u32 v7, v4, s82                                   // 0000000053F4: D2850007 0000A504
	v_add_u32_e32 v55, v6, v7                                  // 0000000053FC: 686E0F06
	v_readlane_b32 s82, v3, 16                                 // 000000005400: D2890052 00012103
	s_lshr_b32 s61, s82, 24                                    // 000000005408: 8F3D9852
	s_and_b32 s82, s82, 0xffffff                               // 00000000540C: 8652FF52 00FFFFFF
	s_mul_i32 s82, s82, s71                                    // 000000005414: 92524752
	s_mul_i32 s61, s60, s61                                    // 000000005418: 923D3D3C
	s_add_u32 s82, s82, s61                                    // 00000000541C: 80523D52
	v_mul_lo_u32 v6, v5, s82                                   // 000000005420: D2850006 0000A505
	v_readlane_b32 s82, v3, 17                                 // 000000005428: D2890052 00012303
	s_lshr_b32 s61, s82, 24                                    // 000000005430: 8F3D9852
	s_and_b32 s82, s82, 0xffffff                               // 000000005434: 8652FF52 00FFFFFF
	s_mul_i32 s82, s82, s71                                    // 00000000543C: 92524752
	s_mul_i32 s61, s60, s61                                    // 000000005440: 923D3D3C
	s_add_u32 s82, s82, s61                                    // 000000005444: 80523D52
	v_mul_lo_u32 v7, v4, s82                                   // 000000005448: D2850007 0000A504
	v_add_u32_e32 v56, v6, v7                                  // 000000005450: 68700F06
	v_readlane_b32 s82, v3, 18                                 // 000000005454: D2890052 00012503
	s_lshr_b32 s61, s82, 24                                    // 00000000545C: 8F3D9852
	s_and_b32 s82, s82, 0xffffff                               // 000000005460: 8652FF52 00FFFFFF
	s_mul_i32 s82, s82, s71                                    // 000000005468: 92524752
	s_mul_i32 s61, s60, s61                                    // 00000000546C: 923D3D3C
	s_add_u32 s82, s82, s61                                    // 000000005470: 80523D52
	v_mul_lo_u32 v6, v5, s82                                   // 000000005474: D2850006 0000A505
	v_readlane_b32 s82, v3, 19                                 // 00000000547C: D2890052 00012703
	s_lshr_b32 s61, s82, 24                                    // 000000005484: 8F3D9852
	s_and_b32 s82, s82, 0xffffff                               // 000000005488: 8652FF52 00FFFFFF
	s_mul_i32 s82, s82, s71                                    // 000000005490: 92524752
	s_mul_i32 s61, s60, s61                                    // 000000005494: 923D3D3C
	s_add_u32 s82, s82, s61                                    // 000000005498: 80523D52
	v_mul_lo_u32 v7, v4, s82                                   // 00000000549C: D2850007 0000A504
	v_add_u32_e32 v57, v6, v7                                  // 0000000054A4: 68720F06
	v_and_b32_e32 v4, 31, v0                                   // 0000000054A8: 2608009F
	v_lshrrev_b32_e32 v4, 1, v4                                // 0000000054AC: 20080881
	s_cmp_eq_u32 s88, 0                                        // 0000000054B0: BF068058
	s_cselect_b32 s61, 2, 4                                    // 0000000054B4: 853D8482
	v_mul_lo_u32 v4, v4, s61                                   // 0000000054B8: D2850004 00007B04
	v_and_b32_e64 v5, v0, 1                                    // 0000000054C0: D1130005 00010300
	v_add_u32_e32 v4, v4, v5                                   // 0000000054C8: 68080B04
	v_lshlrev_b32_e32 v4, 2, v4                                // 0000000054CC: 24080882
	v_add_u32_e32 v48, v48, v4                                 // 0000000054D0: 68600930
	v_add_u32_e32 v49, v49, v4                                 // 0000000054D4: 68620931
	v_add_u32_e32 v50, v50, v4                                 // 0000000054D8: 68640932
	v_add_u32_e32 v51, v51, v4                                 // 0000000054DC: 68660933
	v_add_u32_e32 v52, v52, v4                                 // 0000000054E0: 68680934
	v_add_u32_e32 v53, v53, v4                                 // 0000000054E4: 686A0935
	v_add_u32_e32 v54, v54, v4                                 // 0000000054E8: 686C0936
	v_add_u32_e32 v55, v55, v4                                 // 0000000054EC: 686E0937
	v_add_u32_e32 v56, v56, v4                                 // 0000000054F0: 68700938
	v_add_u32_e32 v57, v57, v4                                 // 0000000054F4: 68720939
	s_waitcnt lgkmcnt(0)                                       // 0000000054F8: BF8CC07F
	s_barrier                                                  // 0000000054FC: BF8A0000
	ds_read_b32 v60, v21                                       // 000000005500: D86C0000 3C000015
	ds_read_b32 v61, v21 offset:64                             // 000000005508: D86C0040 3D000015
	ds_read_b32 v62, v21 offset:2176                           // 000000005510: D86C0880 3E000015
	ds_read_b32 v63, v21 offset:2240                           // 000000005518: D86C08C0 3F000015
	ds_read_b32 v64, v21 offset:4352                           // 000000005520: D86C1100 40000015
	ds_read_b32 v65, v21 offset:4416                           // 000000005528: D86C1140 41000015
	ds_read_b32 v66, v21 offset:6528                           // 000000005530: D86C1980 42000015
	ds_read_b32 v67, v21 offset:6592                           // 000000005538: D86C19C0 43000015
	ds_read_b32 v68, v21 offset:8704                           // 000000005540: D86C2200 44000015
	ds_read_b32 v69, v21 offset:8768                           // 000000005548: D86C2240 45000015
	ds_read_b32 v70, v21 offset:10880                          // 000000005550: D86C2A80 46000015
	ds_read_b32 v71, v21 offset:10944                          // 000000005558: D86C2AC0 47000015
	ds_read_b32 v72, v21 offset:13056                          // 000000005560: D86C3300 48000015
	ds_read_b32 v73, v21 offset:13120                          // 000000005568: D86C3340 49000015
	ds_read_b32 v74, v21 offset:15232                          // 000000005570: D86C3B80 4A000015
	ds_read_b32 v75, v21 offset:15296                          // 000000005578: D86C3BC0 4B000015
	ds_read_b32 v76, v21 offset:17408                          // 000000005580: D86C4400 4C000015
	ds_read_b32 v77, v21 offset:17472                          // 000000005588: D86C4440 4D000015
	ds_read_b32 v78, v21 offset:19584                          // 000000005590: D86C4C80 4E000015
	ds_read_b32 v79, v21 offset:19648                          // 000000005598: D86C4CC0 4F000015
	s_waitcnt lgkmcnt(0)                                       // 0000000055A0: BF8CC07F
	s_mov_b32 s36, -1                                          // 0000000055A4: BEA400C1
	s_mov_b32 s37, -1                                          // 0000000055A8: BEA500C1
	v_mov_b32_e32 v7, 0                                        // 0000000055AC: 7E0E0280
	s_or_b32 s9, s9, 0x40000                                   // 0000000055B0: 8709FF09 00040000
	s_mov_b64 exec, s[36:37]                                   // 0000000055B8: BEFE0124
	v_mov_b32_e32 v6, v48                                      // 0000000055BC: 7E0C0330
	s_mov_b64 s[60:61], 0                                      // 0000000055C0: BEBC0180
	v_readlane_b32 s82, v3, 0                                  // 0000000055C4: D2890052 00010103
	s_and_b32 s82, s82, 0xffffff                               // 0000000055CC: 8652FF52 00FFFFFF
	s_cmp_lt_u32 s82, s66                                      // 0000000055D4: BF0A4252
	s_cselect_b32 s20, s36, s60                                // 0000000055D8: 85143C24
	v_readlane_b32 s82, v3, 1                                  // 0000000055DC: D2890052 00010303
	s_and_b32 s82, s82, 0xffffff                               // 0000000055E4: 8652FF52 00FFFFFF
	s_cmp_lt_u32 s82, s66                                      // 0000000055EC: BF0A4252
	s_cselect_b32 s21, s36, s60                                // 0000000055F0: 85153C24
	s_mov_b64 exec, s[20:21]                                   // 0000000055F4: BEFE0114
	buffer_store_dword v60, v6, s[8:11], 0 offen               // 0000000055F8: E0701000 80023C06
	buffer_store_dword v62, v6, s[8:11], 0 offen offset:128    // 000000005600: E0701080 80023E06
	s_mov_b64 exec, s[36:37]                                   // 000000005608: BEFE0124
	v_mov_b32_e32 v6, v49                                      // 00000000560C: 7E0C0331
	s_mov_b64 s[60:61], 0                                      // 000000005610: BEBC0180
	v_readlane_b32 s82, v3, 2                                  // 000000005614: D2890052 00010503
	s_and_b32 s82, s82, 0xffffff                               // 00000000561C: 8652FF52 00FFFFFF
	s_cmp_lt_u32 s82, s66                                      // 000000005624: BF0A4252
	s_cselect_b32 s20, s36, s60                                // 000000005628: 85143C24
	v_readlane_b32 s82, v3, 3                                  // 00000000562C: D2890052 00010703
	s_and_b32 s82, s82, 0xffffff                               // 000000005634: 8652FF52 00FFFFFF
	s_cmp_lt_u32 s82, s66                                      // 00000000563C: BF0A4252
	s_cselect_b32 s21, s36, s60                                // 000000005640: 85153C24
	s_mov_b64 exec, s[20:21]                                   // 000000005644: BEFE0114
	buffer_store_dword v61, v6, s[8:11], 0 offen               // 000000005648: E0701000 80023D06
	buffer_store_dword v63, v6, s[8:11], 0 offen offset:128    // 000000005650: E0701080 80023F06
	s_mov_b64 exec, s[36:37]                                   // 000000005658: BEFE0124
	v_mov_b32_e32 v6, v50                                      // 00000000565C: 7E0C0332
	s_mov_b64 s[60:61], 0                                      // 000000005660: BEBC0180
	v_readlane_b32 s82, v3, 4                                  // 000000005664: D2890052 00010903
	s_and_b32 s82, s82, 0xffffff                               // 00000000566C: 8652FF52 00FFFFFF
	s_cmp_lt_u32 s82, s66                                      // 000000005674: BF0A4252
	s_cselect_b32 s20, s36, s60                                // 000000005678: 85143C24
	v_readlane_b32 s82, v3, 5                                  // 00000000567C: D2890052 00010B03
	s_and_b32 s82, s82, 0xffffff                               // 000000005684: 8652FF52 00FFFFFF
	s_cmp_lt_u32 s82, s66                                      // 00000000568C: BF0A4252
	s_cselect_b32 s21, s36, s60                                // 000000005690: 85153C24
	s_mov_b64 exec, s[20:21]                                   // 000000005694: BEFE0114
	buffer_store_dword v64, v6, s[8:11], 0 offen               // 000000005698: E0701000 80024006
	buffer_store_dword v66, v6, s[8:11], 0 offen offset:128    // 0000000056A0: E0701080 80024206
	s_mov_b64 exec, s[36:37]                                   // 0000000056A8: BEFE0124
	v_mov_b32_e32 v6, v51                                      // 0000000056AC: 7E0C0333
	s_mov_b64 s[60:61], 0                                      // 0000000056B0: BEBC0180
	v_readlane_b32 s82, v3, 6                                  // 0000000056B4: D2890052 00010D03
	s_and_b32 s82, s82, 0xffffff                               // 0000000056BC: 8652FF52 00FFFFFF
	s_cmp_lt_u32 s82, s66                                      // 0000000056C4: BF0A4252
	s_cselect_b32 s20, s36, s60                                // 0000000056C8: 85143C24
	v_readlane_b32 s82, v3, 7                                  // 0000000056CC: D2890052 00010F03
	s_and_b32 s82, s82, 0xffffff                               // 0000000056D4: 8652FF52 00FFFFFF
	s_cmp_lt_u32 s82, s66                                      // 0000000056DC: BF0A4252
	s_cselect_b32 s21, s36, s60                                // 0000000056E0: 85153C24
	s_mov_b64 exec, s[20:21]                                   // 0000000056E4: BEFE0114
	buffer_store_dword v65, v6, s[8:11], 0 offen               // 0000000056E8: E0701000 80024106
	buffer_store_dword v67, v6, s[8:11], 0 offen offset:128    // 0000000056F0: E0701080 80024306
	s_mov_b64 exec, s[36:37]                                   // 0000000056F8: BEFE0124
	v_mov_b32_e32 v6, v52                                      // 0000000056FC: 7E0C0334
	s_mov_b64 s[60:61], 0                                      // 000000005700: BEBC0180
	v_readlane_b32 s82, v3, 8                                  // 000000005704: D2890052 00011103
	s_and_b32 s82, s82, 0xffffff                               // 00000000570C: 8652FF52 00FFFFFF
	s_cmp_lt_u32 s82, s66                                      // 000000005714: BF0A4252
	s_cselect_b32 s20, s36, s60                                // 000000005718: 85143C24
	v_readlane_b32 s82, v3, 9                                  // 00000000571C: D2890052 00011303
	s_and_b32 s82, s82, 0xffffff                               // 000000005724: 8652FF52 00FFFFFF
	s_cmp_lt_u32 s82, s66                                      // 00000000572C: BF0A4252
	s_cselect_b32 s21, s36, s60                                // 000000005730: 85153C24
	s_mov_b64 exec, s[20:21]                                   // 000000005734: BEFE0114
	buffer_store_dword v68, v6, s[8:11], 0 offen               // 000000005738: E0701000 80024406
	buffer_store_dword v70, v6, s[8:11], 0 offen offset:128    // 000000005740: E0701080 80024606
	s_mov_b64 exec, s[36:37]                                   // 000000005748: BEFE0124
	v_mov_b32_e32 v6, v53                                      // 00000000574C: 7E0C0335
	s_mov_b64 s[60:61], 0                                      // 000000005750: BEBC0180
	v_readlane_b32 s82, v3, 10                                 // 000000005754: D2890052 00011503
	s_and_b32 s82, s82, 0xffffff                               // 00000000575C: 8652FF52 00FFFFFF
	s_cmp_lt_u32 s82, s66                                      // 000000005764: BF0A4252
	s_cselect_b32 s20, s36, s60                                // 000000005768: 85143C24
	v_readlane_b32 s82, v3, 11                                 // 00000000576C: D2890052 00011703
	s_and_b32 s82, s82, 0xffffff                               // 000000005774: 8652FF52 00FFFFFF
	s_cmp_lt_u32 s82, s66                                      // 00000000577C: BF0A4252
	s_cselect_b32 s21, s36, s60                                // 000000005780: 85153C24
	s_mov_b64 exec, s[20:21]                                   // 000000005784: BEFE0114
	buffer_store_dword v69, v6, s[8:11], 0 offen               // 000000005788: E0701000 80024506
	buffer_store_dword v71, v6, s[8:11], 0 offen offset:128    // 000000005790: E0701080 80024706
	s_mov_b64 exec, s[36:37]                                   // 000000005798: BEFE0124
	v_mov_b32_e32 v6, v54                                      // 00000000579C: 7E0C0336
	s_mov_b64 s[60:61], 0                                      // 0000000057A0: BEBC0180
	v_readlane_b32 s82, v3, 12                                 // 0000000057A4: D2890052 00011903
	s_and_b32 s82, s82, 0xffffff                               // 0000000057AC: 8652FF52 00FFFFFF
	s_cmp_lt_u32 s82, s66                                      // 0000000057B4: BF0A4252
	s_cselect_b32 s20, s36, s60                                // 0000000057B8: 85143C24
	v_readlane_b32 s82, v3, 13                                 // 0000000057BC: D2890052 00011B03
	s_and_b32 s82, s82, 0xffffff                               // 0000000057C4: 8652FF52 00FFFFFF
	s_cmp_lt_u32 s82, s66                                      // 0000000057CC: BF0A4252
	s_cselect_b32 s21, s36, s60                                // 0000000057D0: 85153C24
	s_mov_b64 exec, s[20:21]                                   // 0000000057D4: BEFE0114
	buffer_store_dword v72, v6, s[8:11], 0 offen               // 0000000057D8: E0701000 80024806
	buffer_store_dword v74, v6, s[8:11], 0 offen offset:128    // 0000000057E0: E0701080 80024A06
	s_mov_b64 exec, s[36:37]                                   // 0000000057E8: BEFE0124
	v_mov_b32_e32 v6, v55                                      // 0000000057EC: 7E0C0337
	s_mov_b64 s[60:61], 0                                      // 0000000057F0: BEBC0180
	v_readlane_b32 s82, v3, 14                                 // 0000000057F4: D2890052 00011D03
	s_and_b32 s82, s82, 0xffffff                               // 0000000057FC: 8652FF52 00FFFFFF
	s_cmp_lt_u32 s82, s66                                      // 000000005804: BF0A4252
	s_cselect_b32 s20, s36, s60                                // 000000005808: 85143C24
	v_readlane_b32 s82, v3, 15                                 // 00000000580C: D2890052 00011F03
	s_and_b32 s82, s82, 0xffffff                               // 000000005814: 8652FF52 00FFFFFF
	s_cmp_lt_u32 s82, s66                                      // 00000000581C: BF0A4252
	s_cselect_b32 s21, s36, s60                                // 000000005820: 85153C24
	s_mov_b64 exec, s[20:21]                                   // 000000005824: BEFE0114
	buffer_store_dword v73, v6, s[8:11], 0 offen               // 000000005828: E0701000 80024906
	buffer_store_dword v75, v6, s[8:11], 0 offen offset:128    // 000000005830: E0701080 80024B06
	s_mov_b64 exec, s[36:37]                                   // 000000005838: BEFE0124
	v_mov_b32_e32 v6, v56                                      // 00000000583C: 7E0C0338
	s_mov_b64 s[60:61], 0                                      // 000000005840: BEBC0180
	v_readlane_b32 s82, v3, 16                                 // 000000005844: D2890052 00012103
	s_and_b32 s82, s82, 0xffffff                               // 00000000584C: 8652FF52 00FFFFFF
	s_cmp_lt_u32 s82, s66                                      // 000000005854: BF0A4252
	s_cselect_b32 s20, s36, s60                                // 000000005858: 85143C24
	v_readlane_b32 s82, v3, 17                                 // 00000000585C: D2890052 00012303
	s_and_b32 s82, s82, 0xffffff                               // 000000005864: 8652FF52 00FFFFFF
	s_cmp_lt_u32 s82, s66                                      // 00000000586C: BF0A4252
	s_cselect_b32 s21, s36, s60                                // 000000005870: 85153C24
	s_mov_b64 exec, s[20:21]                                   // 000000005874: BEFE0114
	buffer_store_dword v76, v6, s[8:11], 0 offen               // 000000005878: E0701000 80024C06
	buffer_store_dword v78, v6, s[8:11], 0 offen offset:128    // 000000005880: E0701080 80024E06
	s_mov_b64 exec, s[36:37]                                   // 000000005888: BEFE0124
	v_mov_b32_e32 v6, v57                                      // 00000000588C: 7E0C0339
	s_mov_b64 s[60:61], 0                                      // 000000005890: BEBC0180
	v_readlane_b32 s82, v3, 18                                 // 000000005894: D2890052 00012503
	s_and_b32 s82, s82, 0xffffff                               // 00000000589C: 8652FF52 00FFFFFF
	s_cmp_lt_u32 s82, s66                                      // 0000000058A4: BF0A4252
	s_cselect_b32 s20, s36, s60                                // 0000000058A8: 85143C24
	v_readlane_b32 s82, v3, 19                                 // 0000000058AC: D2890052 00012703
	s_and_b32 s82, s82, 0xffffff                               // 0000000058B4: 8652FF52 00FFFFFF
	s_cmp_lt_u32 s82, s66                                      // 0000000058BC: BF0A4252
	s_cselect_b32 s21, s36, s60                                // 0000000058C0: 85153C24
	s_mov_b64 exec, s[20:21]                                   // 0000000058C4: BEFE0114
	buffer_store_dword v77, v6, s[8:11], 0 offen               // 0000000058C8: E0701000 80024D06
	buffer_store_dword v79, v6, s[8:11], 0 offen offset:128    // 0000000058D0: E0701080 80024F06
	s_mov_b64 exec, s[36:37]                                   // 0000000058D8: BEFE0124
	s_branch label_1EDA                                        // 0000000058DC: BF82131F

00000000000058e0 <label_0BB8>:
	ds_write_b64 v20, v[60:61]                                 // 0000000058E0: D89A0000 00003C14
	ds_write_b64 v20, v[64:65] offset:4352                     // 0000000058E8: D89A1100 00004014
	ds_write_b64 v20, v[68:69] offset:8704                     // 0000000058F0: D89A2200 00004414
	ds_write_b64 v20, v[72:73] offset:13056                    // 0000000058F8: D89A3300 00004814
	ds_write_b64 v20, v[76:77] offset:17408                    // 000000005900: D89A4400 00004C14
	ds_write_b64 v20, v[80:81] offset:2176                     // 000000005908: D89A0880 00005014
	ds_write_b64 v20, v[84:85] offset:6528                     // 000000005910: D89A1980 00005414
	ds_write_b64 v20, v[88:89] offset:10880                    // 000000005918: D89A2A80 00005814
	ds_write_b64 v20, v[92:93] offset:15232                    // 000000005920: D89A3B80 00005C14
	ds_write_b64 v20, v[96:97] offset:19584                    // 000000005928: D89A4C80 00006014
	v_lshrrev_b32_e32 v4, 5, v0                                // 000000005930: 20080085
	v_xor_b32_e32 v5, 1, v4                                    // 000000005934: 2A0A0881
	s_mul_i32 s60, s65, 2                                      // 000000005938: 923C8241
	s_cmp_eq_u32 s88, 0                                        // 00000000593C: BF068058
	s_cselect_b32 s61, 1, 4                                    // 000000005940: 853D8481
	s_mul_i32 s60, s61, s60                                    // 000000005944: 923C3C3D
	v_readlane_b32 s82, v3, 0                                  // 000000005948: D2890052 00010103
	s_lshr_b32 s61, s82, 24                                    // 000000005950: 8F3D9852
	s_and_b32 s82, s82, 0xffffff                               // 000000005954: 8652FF52 00FFFFFF
	s_mul_i32 s82, s82, s71                                    // 00000000595C: 92524752
	s_mul_i32 s61, s60, s61                                    // 000000005960: 923D3D3C
	s_add_u32 s82, s82, s61                                    // 000000005964: 80523D52
	v_mul_lo_u32 v6, v5, s82                                   // 000000005968: D2850006 0000A505
	v_readlane_b32 s82, v3, 1                                  // 000000005970: D2890052 00010303
	s_lshr_b32 s61, s82, 24                                    // 000000005978: 8F3D9852
	s_and_b32 s82, s82, 0xffffff                               // 00000000597C: 8652FF52 00FFFFFF
	s_mul_i32 s82, s82, s71                                    // 000000005984: 92524752
	s_mul_i32 s61, s60, s61                                    // 000000005988: 923D3D3C
	s_add_u32 s82, s82, s61                                    // 00000000598C: 80523D52
	v_mul_lo_u32 v7, v4, s82                                   // 000000005990: D2850007 0000A504
	v_add_u32_e32 v48, v6, v7                                  // 000000005998: 68600F06
	v_readlane_b32 s82, v3, 2                                  // 00000000599C: D2890052 00010503
	s_lshr_b32 s61, s82, 24                                    // 0000000059A4: 8F3D9852
	s_and_b32 s82, s82, 0xffffff                               // 0000000059A8: 8652FF52 00FFFFFF
	s_mul_i32 s82, s82, s71                                    // 0000000059B0: 92524752
	s_mul_i32 s61, s60, s61                                    // 0000000059B4: 923D3D3C
	s_add_u32 s82, s82, s61                                    // 0000000059B8: 80523D52
	v_mul_lo_u32 v6, v5, s82                                   // 0000000059BC: D2850006 0000A505
	v_readlane_b32 s82, v3, 3                                  // 0000000059C4: D2890052 00010703
	s_lshr_b32 s61, s82, 24                                    // 0000000059CC: 8F3D9852
	s_and_b32 s82, s82, 0xffffff                               // 0000000059D0: 8652FF52 00FFFFFF
	s_mul_i32 s82, s82, s71                                    // 0000000059D8: 92524752
	s_mul_i32 s61, s60, s61                                    // 0000000059DC: 923D3D3C
	s_add_u32 s82, s82, s61                                    // 0000000059E0: 80523D52
	v_mul_lo_u32 v7, v4, s82                                   // 0000000059E4: D2850007 0000A504
	v_add_u32_e32 v49, v6, v7                                  // 0000000059EC: 68620F06
	v_readlane_b32 s82, v3, 4                                  // 0000000059F0: D2890052 00010903
	s_lshr_b32 s61, s82, 24                                    // 0000000059F8: 8F3D9852
	s_and_b32 s82, s82, 0xffffff                               // 0000000059FC: 8652FF52 00FFFFFF
	s_mul_i32 s82, s82, s71                                    // 000000005A04: 92524752
	s_mul_i32 s61, s60, s61                                    // 000000005A08: 923D3D3C
	s_add_u32 s82, s82, s61                                    // 000000005A0C: 80523D52
	v_mul_lo_u32 v6, v5, s82                                   // 000000005A10: D2850006 0000A505
	v_readlane_b32 s82, v3, 5                                  // 000000005A18: D2890052 00010B03
	s_lshr_b32 s61, s82, 24                                    // 000000005A20: 8F3D9852
	s_and_b32 s82, s82, 0xffffff                               // 000000005A24: 8652FF52 00FFFFFF
	s_mul_i32 s82, s82, s71                                    // 000000005A2C: 92524752
	s_mul_i32 s61, s60, s61                                    // 000000005A30: 923D3D3C
	s_add_u32 s82, s82, s61                                    // 000000005A34: 80523D52
	v_mul_lo_u32 v7, v4, s82                                   // 000000005A38: D2850007 0000A504
	v_add_u32_e32 v50, v6, v7                                  // 000000005A40: 68640F06
	v_readlane_b32 s82, v3, 6                                  // 000000005A44: D2890052 00010D03
	s_lshr_b32 s61, s82, 24                                    // 000000005A4C: 8F3D9852
	s_and_b32 s82, s82, 0xffffff                               // 000000005A50: 8652FF52 00FFFFFF
	s_mul_i32 s82, s82, s71                                    // 000000005A58: 92524752
	s_mul_i32 s61, s60, s61                                    // 000000005A5C: 923D3D3C
	s_add_u32 s82, s82, s61                                    // 000000005A60: 80523D52
	v_mul_lo_u32 v6, v5, s82                                   // 000000005A64: D2850006 0000A505
	v_readlane_b32 s82, v3, 7                                  // 000000005A6C: D2890052 00010F03
	s_lshr_b32 s61, s82, 24                                    // 000000005A74: 8F3D9852
	s_and_b32 s82, s82, 0xffffff                               // 000000005A78: 8652FF52 00FFFFFF
	s_mul_i32 s82, s82, s71                                    // 000000005A80: 92524752
	s_mul_i32 s61, s60, s61                                    // 000000005A84: 923D3D3C
	s_add_u32 s82, s82, s61                                    // 000000005A88: 80523D52
	v_mul_lo_u32 v7, v4, s82                                   // 000000005A8C: D2850007 0000A504
	v_add_u32_e32 v51, v6, v7                                  // 000000005A94: 68660F06
	v_readlane_b32 s82, v3, 8                                  // 000000005A98: D2890052 00011103
	s_lshr_b32 s61, s82, 24                                    // 000000005AA0: 8F3D9852
	s_and_b32 s82, s82, 0xffffff                               // 000000005AA4: 8652FF52 00FFFFFF
	s_mul_i32 s82, s82, s71                                    // 000000005AAC: 92524752
	s_mul_i32 s61, s60, s61                                    // 000000005AB0: 923D3D3C
	s_add_u32 s82, s82, s61                                    // 000000005AB4: 80523D52
	v_mul_lo_u32 v6, v5, s82                                   // 000000005AB8: D2850006 0000A505
	v_readlane_b32 s82, v3, 9                                  // 000000005AC0: D2890052 00011303
	s_lshr_b32 s61, s82, 24                                    // 000000005AC8: 8F3D9852
	s_and_b32 s82, s82, 0xffffff                               // 000000005ACC: 8652FF52 00FFFFFF
	s_mul_i32 s82, s82, s71                                    // 000000005AD4: 92524752
	s_mul_i32 s61, s60, s61                                    // 000000005AD8: 923D3D3C
	s_add_u32 s82, s82, s61                                    // 000000005ADC: 80523D52
	v_mul_lo_u32 v7, v4, s82                                   // 000000005AE0: D2850007 0000A504
	v_add_u32_e32 v52, v6, v7                                  // 000000005AE8: 68680F06
	v_readlane_b32 s82, v3, 10                                 // 000000005AEC: D2890052 00011503
	s_lshr_b32 s61, s82, 24                                    // 000000005AF4: 8F3D9852
	s_and_b32 s82, s82, 0xffffff                               // 000000005AF8: 8652FF52 00FFFFFF
	s_mul_i32 s82, s82, s71                                    // 000000005B00: 92524752
	s_mul_i32 s61, s60, s61                                    // 000000005B04: 923D3D3C
	s_add_u32 s82, s82, s61                                    // 000000005B08: 80523D52
	v_mul_lo_u32 v6, v5, s82                                   // 000000005B0C: D2850006 0000A505
	v_readlane_b32 s82, v3, 11                                 // 000000005B14: D2890052 00011703
	s_lshr_b32 s61, s82, 24                                    // 000000005B1C: 8F3D9852
	s_and_b32 s82, s82, 0xffffff                               // 000000005B20: 8652FF52 00FFFFFF
	s_mul_i32 s82, s82, s71                                    // 000000005B28: 92524752
	s_mul_i32 s61, s60, s61                                    // 000000005B2C: 923D3D3C
	s_add_u32 s82, s82, s61                                    // 000000005B30: 80523D52
	v_mul_lo_u32 v7, v4, s82                                   // 000000005B34: D2850007 0000A504
	v_add_u32_e32 v53, v6, v7                                  // 000000005B3C: 686A0F06
	v_readlane_b32 s82, v3, 12                                 // 000000005B40: D2890052 00011903
	s_lshr_b32 s61, s82, 24                                    // 000000005B48: 8F3D9852
	s_and_b32 s82, s82, 0xffffff                               // 000000005B4C: 8652FF52 00FFFFFF
	s_mul_i32 s82, s82, s71                                    // 000000005B54: 92524752
	s_mul_i32 s61, s60, s61                                    // 000000005B58: 923D3D3C
	s_add_u32 s82, s82, s61                                    // 000000005B5C: 80523D52
	v_mul_lo_u32 v6, v5, s82                                   // 000000005B60: D2850006 0000A505
	v_readlane_b32 s82, v3, 13                                 // 000000005B68: D2890052 00011B03
	s_lshr_b32 s61, s82, 24                                    // 000000005B70: 8F3D9852
	s_and_b32 s82, s82, 0xffffff                               // 000000005B74: 8652FF52 00FFFFFF
	s_mul_i32 s82, s82, s71                                    // 000000005B7C: 92524752
	s_mul_i32 s61, s60, s61                                    // 000000005B80: 923D3D3C
	s_add_u32 s82, s82, s61                                    // 000000005B84: 80523D52
	v_mul_lo_u32 v7, v4, s82                                   // 000000005B88: D2850007 0000A504
	v_add_u32_e32 v54, v6, v7                                  // 000000005B90: 686C0F06
	v_readlane_b32 s82, v3, 14                                 // 000000005B94: D2890052 00011D03
	s_lshr_b32 s61, s82, 24                                    // 000000005B9C: 8F3D9852
	s_and_b32 s82, s82, 0xffffff                               // 000000005BA0: 8652FF52 00FFFFFF
	s_mul_i32 s82, s82, s71                                    // 000000005BA8: 92524752
	s_mul_i32 s61, s60, s61                                    // 000000005BAC: 923D3D3C
	s_add_u32 s82, s82, s61                                    // 000000005BB0: 80523D52
	v_mul_lo_u32 v6, v5, s82                                   // 000000005BB4: D2850006 0000A505
	v_readlane_b32 s82, v3, 15                                 // 000000005BBC: D2890052 00011F03
	s_lshr_b32 s61, s82, 24                                    // 000000005BC4: 8F3D9852
	s_and_b32 s82, s82, 0xffffff                               // 000000005BC8: 8652FF52 00FFFFFF
	s_mul_i32 s82, s82, s71                                    // 000000005BD0: 92524752
	s_mul_i32 s61, s60, s61                                    // 000000005BD4: 923D3D3C
	s_add_u32 s82, s82, s61                                    // 000000005BD8: 80523D52
	v_mul_lo_u32 v7, v4, s82                                   // 000000005BDC: D2850007 0000A504
	v_add_u32_e32 v55, v6, v7                                  // 000000005BE4: 686E0F06
	v_readlane_b32 s82, v3, 16                                 // 000000005BE8: D2890052 00012103
	s_lshr_b32 s61, s82, 24                                    // 000000005BF0: 8F3D9852
	s_and_b32 s82, s82, 0xffffff                               // 000000005BF4: 8652FF52 00FFFFFF
	s_mul_i32 s82, s82, s71                                    // 000000005BFC: 92524752
	s_mul_i32 s61, s60, s61                                    // 000000005C00: 923D3D3C
	s_add_u32 s82, s82, s61                                    // 000000005C04: 80523D52
	v_mul_lo_u32 v6, v5, s82                                   // 000000005C08: D2850006 0000A505
	v_readlane_b32 s82, v3, 17                                 // 000000005C10: D2890052 00012303
	s_lshr_b32 s61, s82, 24                                    // 000000005C18: 8F3D9852
	s_and_b32 s82, s82, 0xffffff                               // 000000005C1C: 8652FF52 00FFFFFF
	s_mul_i32 s82, s82, s71                                    // 000000005C24: 92524752
	s_mul_i32 s61, s60, s61                                    // 000000005C28: 923D3D3C
	s_add_u32 s82, s82, s61                                    // 000000005C2C: 80523D52
	v_mul_lo_u32 v7, v4, s82                                   // 000000005C30: D2850007 0000A504
	v_add_u32_e32 v56, v6, v7                                  // 000000005C38: 68700F06
	v_readlane_b32 s82, v3, 18                                 // 000000005C3C: D2890052 00012503
	s_lshr_b32 s61, s82, 24                                    // 000000005C44: 8F3D9852
	s_and_b32 s82, s82, 0xffffff                               // 000000005C48: 8652FF52 00FFFFFF
	s_mul_i32 s82, s82, s71                                    // 000000005C50: 92524752
	s_mul_i32 s61, s60, s61                                    // 000000005C54: 923D3D3C
	s_add_u32 s82, s82, s61                                    // 000000005C58: 80523D52
	v_mul_lo_u32 v6, v5, s82                                   // 000000005C5C: D2850006 0000A505
	v_readlane_b32 s82, v3, 19                                 // 000000005C64: D2890052 00012703
	s_lshr_b32 s61, s82, 24                                    // 000000005C6C: 8F3D9852
	s_and_b32 s82, s82, 0xffffff                               // 000000005C70: 8652FF52 00FFFFFF
	s_mul_i32 s82, s82, s71                                    // 000000005C78: 92524752
	s_mul_i32 s61, s60, s61                                    // 000000005C7C: 923D3D3C
	s_add_u32 s82, s82, s61                                    // 000000005C80: 80523D52
	v_mul_lo_u32 v7, v4, s82                                   // 000000005C84: D2850007 0000A504
	v_add_u32_e32 v57, v6, v7                                  // 000000005C8C: 68720F06
	v_and_b32_e32 v4, 31, v0                                   // 000000005C90: 2608009F
	v_lshrrev_b32_e32 v4, 1, v4                                // 000000005C94: 20080881
	s_cmp_eq_u32 s88, 0                                        // 000000005C98: BF068058
	s_cselect_b32 s61, 2, 4                                    // 000000005C9C: 853D8482
	v_mul_lo_u32 v4, v4, s61                                   // 000000005CA0: D2850004 00007B04
	v_and_b32_e64 v5, v0, 1                                    // 000000005CA8: D1130005 00010300
	v_add_u32_e32 v4, v4, v5                                   // 000000005CB0: 68080B04
	v_lshlrev_b32_e32 v4, 2, v4                                // 000000005CB4: 24080882
	v_add_u32_e32 v48, v48, v4                                 // 000000005CB8: 68600930
	v_add_u32_e32 v49, v49, v4                                 // 000000005CBC: 68620931
	v_add_u32_e32 v50, v50, v4                                 // 000000005CC0: 68640932
	v_add_u32_e32 v51, v51, v4                                 // 000000005CC4: 68660933
	v_add_u32_e32 v52, v52, v4                                 // 000000005CC8: 68680934
	v_add_u32_e32 v53, v53, v4                                 // 000000005CCC: 686A0935
	v_add_u32_e32 v54, v54, v4                                 // 000000005CD0: 686C0936
	v_add_u32_e32 v55, v55, v4                                 // 000000005CD4: 686E0937
	v_add_u32_e32 v56, v56, v4                                 // 000000005CD8: 68700938
	v_add_u32_e32 v57, v57, v4                                 // 000000005CDC: 68720939
	s_waitcnt lgkmcnt(0)                                       // 000000005CE0: BF8CC07F
	s_barrier                                                  // 000000005CE4: BF8A0000
	ds_read_b32 v60, v21                                       // 000000005CE8: D86C0000 3C000015
	ds_read_b32 v61, v21 offset:64                             // 000000005CF0: D86C0040 3D000015
	ds_read_b32 v64, v21 offset:2176                           // 000000005CF8: D86C0880 40000015
	ds_read_b32 v65, v21 offset:2240                           // 000000005D00: D86C08C0 41000015
	ds_read_b32 v68, v21 offset:4352                           // 000000005D08: D86C1100 44000015
	ds_read_b32 v69, v21 offset:4416                           // 000000005D10: D86C1140 45000015
	ds_read_b32 v72, v21 offset:6528                           // 000000005D18: D86C1980 48000015
	ds_read_b32 v73, v21 offset:6592                           // 000000005D20: D86C19C0 49000015
	ds_read_b32 v76, v21 offset:8704                           // 000000005D28: D86C2200 4C000015
	ds_read_b32 v77, v21 offset:8768                           // 000000005D30: D86C2240 4D000015
	ds_read_b32 v80, v21 offset:10880                          // 000000005D38: D86C2A80 50000015
	ds_read_b32 v81, v21 offset:10944                          // 000000005D40: D86C2AC0 51000015
	ds_read_b32 v84, v21 offset:13056                          // 000000005D48: D86C3300 54000015
	ds_read_b32 v85, v21 offset:13120                          // 000000005D50: D86C3340 55000015
	ds_read_b32 v88, v21 offset:15232                          // 000000005D58: D86C3B80 58000015
	ds_read_b32 v89, v21 offset:15296                          // 000000005D60: D86C3BC0 59000015
	ds_read_b32 v92, v21 offset:17408                          // 000000005D68: D86C4400 5C000015
	ds_read_b32 v93, v21 offset:17472                          // 000000005D70: D86C4440 5D000015
	ds_read_b32 v96, v21 offset:19584                          // 000000005D78: D86C4C80 60000015
	ds_read_b32 v97, v21 offset:19648                          // 000000005D80: D86C4CC0 61000015
	s_waitcnt lgkmcnt(0)                                       // 000000005D88: BF8CC07F
	s_mov_b32 s36, -1                                          // 000000005D8C: BEA400C1
	s_mov_b32 s37, -1                                          // 000000005D90: BEA500C1
	v_mov_b32_e32 v7, 0                                        // 000000005D94: 7E0E0280
	s_mov_b64 exec, s[36:37]                                   // 000000005D98: BEFE0124
	v_mov_b32_e32 v6, v48                                      // 000000005D9C: 7E0C0330
	s_mov_b64 s[60:61], 0                                      // 000000005DA0: BEBC0180
	v_readlane_b32 s82, v3, 0                                  // 000000005DA4: D2890052 00010103
	s_and_b32 s82, s82, 0xffffff                               // 000000005DAC: 8652FF52 00FFFFFF
	s_cmp_lt_u32 s82, s66                                      // 000000005DB4: BF0A4252
	s_cselect_b32 s20, s36, s60                                // 000000005DB8: 85143C24
	v_readlane_b32 s82, v3, 1                                  // 000000005DBC: D2890052 00010303
	s_and_b32 s82, s82, 0xffffff                               // 000000005DC4: 8652FF52 00FFFFFF
	s_cmp_lt_u32 s82, s66                                      // 000000005DCC: BF0A4252
	s_cselect_b32 s21, s36, s60                                // 000000005DD0: 85153C24
	s_mov_b64 exec, s[20:21]                                   // 000000005DD4: BEFE0114
	global_atomic_add_f32 v6, v60, s[8:9]                      // 000000005DD8: DD348000 00083C06
	global_atomic_add_f32 v6, v64, s[8:9] offset:256           // 000000005DE0: DD348100 00084006
	s_mov_b64 exec, s[36:37]                                   // 000000005DE8: BEFE0124
	v_mov_b32_e32 v6, v49                                      // 000000005DEC: 7E0C0331
	s_mov_b64 s[60:61], 0                                      // 000000005DF0: BEBC0180
	v_readlane_b32 s82, v3, 2                                  // 000000005DF4: D2890052 00010503
	s_and_b32 s82, s82, 0xffffff                               // 000000005DFC: 8652FF52 00FFFFFF
	s_cmp_lt_u32 s82, s66                                      // 000000005E04: BF0A4252
	s_cselect_b32 s20, s36, s60                                // 000000005E08: 85143C24
	v_readlane_b32 s82, v3, 3                                  // 000000005E0C: D2890052 00010703
	s_and_b32 s82, s82, 0xffffff                               // 000000005E14: 8652FF52 00FFFFFF
	s_cmp_lt_u32 s82, s66                                      // 000000005E1C: BF0A4252
	s_cselect_b32 s21, s36, s60                                // 000000005E20: 85153C24
	s_mov_b64 exec, s[20:21]                                   // 000000005E24: BEFE0114
	global_atomic_add_f32 v6, v61, s[8:9]                      // 000000005E28: DD348000 00083D06
	global_atomic_add_f32 v6, v65, s[8:9] offset:256           // 000000005E30: DD348100 00084106
	s_mov_b64 exec, s[36:37]                                   // 000000005E38: BEFE0124
	v_mov_b32_e32 v6, v50                                      // 000000005E3C: 7E0C0332
	s_mov_b64 s[60:61], 0                                      // 000000005E40: BEBC0180
	v_readlane_b32 s82, v3, 4                                  // 000000005E44: D2890052 00010903
	s_and_b32 s82, s82, 0xffffff                               // 000000005E4C: 8652FF52 00FFFFFF
	s_cmp_lt_u32 s82, s66                                      // 000000005E54: BF0A4252
	s_cselect_b32 s20, s36, s60                                // 000000005E58: 85143C24
	v_readlane_b32 s82, v3, 5                                  // 000000005E5C: D2890052 00010B03
	s_and_b32 s82, s82, 0xffffff                               // 000000005E64: 8652FF52 00FFFFFF
	s_cmp_lt_u32 s82, s66                                      // 000000005E6C: BF0A4252
	s_cselect_b32 s21, s36, s60                                // 000000005E70: 85153C24
	s_mov_b64 exec, s[20:21]                                   // 000000005E74: BEFE0114
	global_atomic_add_f32 v6, v68, s[8:9]                      // 000000005E78: DD348000 00084406
	global_atomic_add_f32 v6, v72, s[8:9] offset:256           // 000000005E80: DD348100 00084806
	s_mov_b64 exec, s[36:37]                                   // 000000005E88: BEFE0124
	v_mov_b32_e32 v6, v51                                      // 000000005E8C: 7E0C0333
	s_mov_b64 s[60:61], 0                                      // 000000005E90: BEBC0180
	v_readlane_b32 s82, v3, 6                                  // 000000005E94: D2890052 00010D03
	s_and_b32 s82, s82, 0xffffff                               // 000000005E9C: 8652FF52 00FFFFFF
	s_cmp_lt_u32 s82, s66                                      // 000000005EA4: BF0A4252
	s_cselect_b32 s20, s36, s60                                // 000000005EA8: 85143C24
	v_readlane_b32 s82, v3, 7                                  // 000000005EAC: D2890052 00010F03
	s_and_b32 s82, s82, 0xffffff                               // 000000005EB4: 8652FF52 00FFFFFF
	s_cmp_lt_u32 s82, s66                                      // 000000005EBC: BF0A4252
	s_cselect_b32 s21, s36, s60                                // 000000005EC0: 85153C24
	s_mov_b64 exec, s[20:21]                                   // 000000005EC4: BEFE0114
	global_atomic_add_f32 v6, v69, s[8:9]                      // 000000005EC8: DD348000 00084506
	global_atomic_add_f32 v6, v73, s[8:9] offset:256           // 000000005ED0: DD348100 00084906
	s_mov_b64 exec, s[36:37]                                   // 000000005ED8: BEFE0124
	v_mov_b32_e32 v6, v52                                      // 000000005EDC: 7E0C0334
	s_mov_b64 s[60:61], 0                                      // 000000005EE0: BEBC0180
	v_readlane_b32 s82, v3, 8                                  // 000000005EE4: D2890052 00011103
	s_and_b32 s82, s82, 0xffffff                               // 000000005EEC: 8652FF52 00FFFFFF
	s_cmp_lt_u32 s82, s66                                      // 000000005EF4: BF0A4252
	s_cselect_b32 s20, s36, s60                                // 000000005EF8: 85143C24
	v_readlane_b32 s82, v3, 9                                  // 000000005EFC: D2890052 00011303
	s_and_b32 s82, s82, 0xffffff                               // 000000005F04: 8652FF52 00FFFFFF
	s_cmp_lt_u32 s82, s66                                      // 000000005F0C: BF0A4252
	s_cselect_b32 s21, s36, s60                                // 000000005F10: 85153C24
	s_mov_b64 exec, s[20:21]                                   // 000000005F14: BEFE0114
	global_atomic_add_f32 v6, v76, s[8:9]                      // 000000005F18: DD348000 00084C06
	global_atomic_add_f32 v6, v80, s[8:9] offset:256           // 000000005F20: DD348100 00085006
	s_mov_b64 exec, s[36:37]                                   // 000000005F28: BEFE0124
	v_mov_b32_e32 v6, v53                                      // 000000005F2C: 7E0C0335
	s_mov_b64 s[60:61], 0                                      // 000000005F30: BEBC0180
	v_readlane_b32 s82, v3, 10                                 // 000000005F34: D2890052 00011503
	s_and_b32 s82, s82, 0xffffff                               // 000000005F3C: 8652FF52 00FFFFFF
	s_cmp_lt_u32 s82, s66                                      // 000000005F44: BF0A4252
	s_cselect_b32 s20, s36, s60                                // 000000005F48: 85143C24
	v_readlane_b32 s82, v3, 11                                 // 000000005F4C: D2890052 00011703
	s_and_b32 s82, s82, 0xffffff                               // 000000005F54: 8652FF52 00FFFFFF
	s_cmp_lt_u32 s82, s66                                      // 000000005F5C: BF0A4252
	s_cselect_b32 s21, s36, s60                                // 000000005F60: 85153C24
	s_mov_b64 exec, s[20:21]                                   // 000000005F64: BEFE0114
	global_atomic_add_f32 v6, v77, s[8:9]                      // 000000005F68: DD348000 00084D06
	global_atomic_add_f32 v6, v81, s[8:9] offset:256           // 000000005F70: DD348100 00085106
	s_mov_b64 exec, s[36:37]                                   // 000000005F78: BEFE0124
	v_mov_b32_e32 v6, v54                                      // 000000005F7C: 7E0C0336
	s_mov_b64 s[60:61], 0                                      // 000000005F80: BEBC0180
	v_readlane_b32 s82, v3, 12                                 // 000000005F84: D2890052 00011903
	s_and_b32 s82, s82, 0xffffff                               // 000000005F8C: 8652FF52 00FFFFFF
	s_cmp_lt_u32 s82, s66                                      // 000000005F94: BF0A4252
	s_cselect_b32 s20, s36, s60                                // 000000005F98: 85143C24
	v_readlane_b32 s82, v3, 13                                 // 000000005F9C: D2890052 00011B03
	s_and_b32 s82, s82, 0xffffff                               // 000000005FA4: 8652FF52 00FFFFFF
	s_cmp_lt_u32 s82, s66                                      // 000000005FAC: BF0A4252
	s_cselect_b32 s21, s36, s60                                // 000000005FB0: 85153C24
	s_mov_b64 exec, s[20:21]                                   // 000000005FB4: BEFE0114
	global_atomic_add_f32 v6, v84, s[8:9]                      // 000000005FB8: DD348000 00085406
	global_atomic_add_f32 v6, v88, s[8:9] offset:256           // 000000005FC0: DD348100 00085806
	s_mov_b64 exec, s[36:37]                                   // 000000005FC8: BEFE0124
	v_mov_b32_e32 v6, v55                                      // 000000005FCC: 7E0C0337
	s_mov_b64 s[60:61], 0                                      // 000000005FD0: BEBC0180
	v_readlane_b32 s82, v3, 14                                 // 000000005FD4: D2890052 00011D03
	s_and_b32 s82, s82, 0xffffff                               // 000000005FDC: 8652FF52 00FFFFFF
	s_cmp_lt_u32 s82, s66                                      // 000000005FE4: BF0A4252
	s_cselect_b32 s20, s36, s60                                // 000000005FE8: 85143C24
	v_readlane_b32 s82, v3, 15                                 // 000000005FEC: D2890052 00011F03
	s_and_b32 s82, s82, 0xffffff                               // 000000005FF4: 8652FF52 00FFFFFF
	s_cmp_lt_u32 s82, s66                                      // 000000005FFC: BF0A4252
	s_cselect_b32 s21, s36, s60                                // 000000006000: 85153C24
	s_mov_b64 exec, s[20:21]                                   // 000000006004: BEFE0114
	global_atomic_add_f32 v6, v85, s[8:9]                      // 000000006008: DD348000 00085506
	global_atomic_add_f32 v6, v89, s[8:9] offset:256           // 000000006010: DD348100 00085906
	s_mov_b64 exec, s[36:37]                                   // 000000006018: BEFE0124
	v_mov_b32_e32 v6, v56                                      // 00000000601C: 7E0C0338
	s_mov_b64 s[60:61], 0                                      // 000000006020: BEBC0180
	v_readlane_b32 s82, v3, 16                                 // 000000006024: D2890052 00012103
	s_and_b32 s82, s82, 0xffffff                               // 00000000602C: 8652FF52 00FFFFFF
	s_cmp_lt_u32 s82, s66                                      // 000000006034: BF0A4252
	s_cselect_b32 s20, s36, s60                                // 000000006038: 85143C24
	v_readlane_b32 s82, v3, 17                                 // 00000000603C: D2890052 00012303
	s_and_b32 s82, s82, 0xffffff                               // 000000006044: 8652FF52 00FFFFFF
	s_cmp_lt_u32 s82, s66                                      // 00000000604C: BF0A4252
	s_cselect_b32 s21, s36, s60                                // 000000006050: 85153C24
	s_mov_b64 exec, s[20:21]                                   // 000000006054: BEFE0114
	global_atomic_add_f32 v6, v92, s[8:9]                      // 000000006058: DD348000 00085C06
	global_atomic_add_f32 v6, v96, s[8:9] offset:256           // 000000006060: DD348100 00086006
	s_mov_b64 exec, s[36:37]                                   // 000000006068: BEFE0124
	v_mov_b32_e32 v6, v57                                      // 00000000606C: 7E0C0339
	s_mov_b64 s[60:61], 0                                      // 000000006070: BEBC0180
	v_readlane_b32 s82, v3, 18                                 // 000000006074: D2890052 00012503
	s_and_b32 s82, s82, 0xffffff                               // 00000000607C: 8652FF52 00FFFFFF
	s_cmp_lt_u32 s82, s66                                      // 000000006084: BF0A4252
	s_cselect_b32 s20, s36, s60                                // 000000006088: 85143C24
	v_readlane_b32 s82, v3, 19                                 // 00000000608C: D2890052 00012703
	s_and_b32 s82, s82, 0xffffff                               // 000000006094: 8652FF52 00FFFFFF
	s_cmp_lt_u32 s82, s66                                      // 00000000609C: BF0A4252
	s_cselect_b32 s21, s36, s60                                // 0000000060A0: 85153C24
	s_mov_b64 exec, s[20:21]                                   // 0000000060A4: BEFE0114
	global_atomic_add_f32 v6, v93, s[8:9]                      // 0000000060A8: DD348000 00085D06
	global_atomic_add_f32 v6, v97, s[8:9] offset:256           // 0000000060B0: DD348100 00086106
	s_mov_b64 exec, s[36:37]                                   // 0000000060B8: BEFE0124
	ds_write_b64 v20, v[62:63]                                 // 0000000060BC: D89A0000 00003E14
	ds_write_b64 v20, v[66:67] offset:4352                     // 0000000060C4: D89A1100 00004214
	ds_write_b64 v20, v[70:71] offset:8704                     // 0000000060CC: D89A2200 00004614
	ds_write_b64 v20, v[74:75] offset:13056                    // 0000000060D4: D89A3300 00004A14
	ds_write_b64 v20, v[78:79] offset:17408                    // 0000000060DC: D89A4400 00004E14
	ds_write_b64 v20, v[82:83] offset:2176                     // 0000000060E4: D89A0880 00005214
	ds_write_b64 v20, v[86:87] offset:6528                     // 0000000060EC: D89A1980 00005614
	ds_write_b64 v20, v[90:91] offset:10880                    // 0000000060F4: D89A2A80 00005A14
	ds_write_b64 v20, v[94:95] offset:15232                    // 0000000060FC: D89A3B80 00005E14
	ds_write_b64 v20, v[98:99] offset:19584                    // 000000006104: D89A4C80 00006214
	s_waitcnt lgkmcnt(0)                                       // 00000000610C: BF8CC07F
	s_barrier                                                  // 000000006110: BF8A0000
	ds_read_b32 v62, v21                                       // 000000006114: D86C0000 3E000015
	ds_read_b32 v63, v21 offset:64                             // 00000000611C: D86C0040 3F000015
	ds_read_b32 v66, v21 offset:2176                           // 000000006124: D86C0880 42000015
	ds_read_b32 v67, v21 offset:2240                           // 00000000612C: D86C08C0 43000015
	ds_read_b32 v70, v21 offset:4352                           // 000000006134: D86C1100 46000015
	ds_read_b32 v71, v21 offset:4416                           // 00000000613C: D86C1140 47000015
	ds_read_b32 v74, v21 offset:6528                           // 000000006144: D86C1980 4A000015
	ds_read_b32 v75, v21 offset:6592                           // 00000000614C: D86C19C0 4B000015
	ds_read_b32 v78, v21 offset:8704                           // 000000006154: D86C2200 4E000015
	ds_read_b32 v79, v21 offset:8768                           // 00000000615C: D86C2240 4F000015
	ds_read_b32 v82, v21 offset:10880                          // 000000006164: D86C2A80 52000015
	ds_read_b32 v83, v21 offset:10944                          // 00000000616C: D86C2AC0 53000015
	ds_read_b32 v86, v21 offset:13056                          // 000000006174: D86C3300 56000015
	ds_read_b32 v87, v21 offset:13120                          // 00000000617C: D86C3340 57000015
	ds_read_b32 v90, v21 offset:15232                          // 000000006184: D86C3B80 5A000015
	ds_read_b32 v91, v21 offset:15296                          // 00000000618C: D86C3BC0 5B000015
	ds_read_b32 v94, v21 offset:17408                          // 000000006194: D86C4400 5E000015
	ds_read_b32 v95, v21 offset:17472                          // 00000000619C: D86C4440 5F000015
	ds_read_b32 v98, v21 offset:19584                          // 0000000061A4: D86C4C80 62000015
	ds_read_b32 v99, v21 offset:19648                          // 0000000061AC: D86C4CC0 63000015
	s_waitcnt lgkmcnt(0)                                       // 0000000061B4: BF8CC07F
	v_mov_b32_e32 v7, 0                                        // 0000000061B8: 7E0E0280
	s_mov_b64 exec, s[36:37]                                   // 0000000061BC: BEFE0124
	v_mov_b32_e32 v6, v48                                      // 0000000061C0: 7E0C0330
	s_mov_b64 s[60:61], 0                                      // 0000000061C4: BEBC0180
	v_readlane_b32 s82, v3, 0                                  // 0000000061C8: D2890052 00010103
	s_and_b32 s82, s82, 0xffffff                               // 0000000061D0: 8652FF52 00FFFFFF
	s_cmp_lt_u32 s82, s66                                      // 0000000061D8: BF0A4252
	s_cselect_b32 s20, s36, s60                                // 0000000061DC: 85143C24
	v_readlane_b32 s82, v3, 1                                  // 0000000061E0: D2890052 00010303
	s_and_b32 s82, s82, 0xffffff                               // 0000000061E8: 8652FF52 00FFFFFF
	s_cmp_lt_u32 s82, s66                                      // 0000000061F0: BF0A4252
	s_cselect_b32 s21, s36, s60                                // 0000000061F4: 85153C24
	s_mov_b64 exec, s[20:21]                                   // 0000000061F8: BEFE0114
	global_atomic_add_f32 v6, v62, s[8:9] offset:8             // 0000000061FC: DD348008 00083E06
	global_atomic_add_f32 v6, v66, s[8:9] offset:264           // 000000006204: DD348108 00084206
	s_mov_b64 exec, s[36:37]                                   // 00000000620C: BEFE0124
	v_mov_b32_e32 v6, v49                                      // 000000006210: 7E0C0331
	s_mov_b64 s[60:61], 0                                      // 000000006214: BEBC0180
	v_readlane_b32 s82, v3, 2                                  // 000000006218: D2890052 00010503
	s_and_b32 s82, s82, 0xffffff                               // 000000006220: 8652FF52 00FFFFFF
	s_cmp_lt_u32 s82, s66                                      // 000000006228: BF0A4252
	s_cselect_b32 s20, s36, s60                                // 00000000622C: 85143C24
	v_readlane_b32 s82, v3, 3                                  // 000000006230: D2890052 00010703
	s_and_b32 s82, s82, 0xffffff                               // 000000006238: 8652FF52 00FFFFFF
	s_cmp_lt_u32 s82, s66                                      // 000000006240: BF0A4252
	s_cselect_b32 s21, s36, s60                                // 000000006244: 85153C24
	s_mov_b64 exec, s[20:21]                                   // 000000006248: BEFE0114
	global_atomic_add_f32 v6, v63, s[8:9] offset:8             // 00000000624C: DD348008 00083F06
	global_atomic_add_f32 v6, v67, s[8:9] offset:264           // 000000006254: DD348108 00084306
	s_mov_b64 exec, s[36:37]                                   // 00000000625C: BEFE0124
	v_mov_b32_e32 v6, v50                                      // 000000006260: 7E0C0332
	s_mov_b64 s[60:61], 0                                      // 000000006264: BEBC0180
	v_readlane_b32 s82, v3, 4                                  // 000000006268: D2890052 00010903
	s_and_b32 s82, s82, 0xffffff                               // 000000006270: 8652FF52 00FFFFFF
	s_cmp_lt_u32 s82, s66                                      // 000000006278: BF0A4252
	s_cselect_b32 s20, s36, s60                                // 00000000627C: 85143C24
	v_readlane_b32 s82, v3, 5                                  // 000000006280: D2890052 00010B03
	s_and_b32 s82, s82, 0xffffff                               // 000000006288: 8652FF52 00FFFFFF
	s_cmp_lt_u32 s82, s66                                      // 000000006290: BF0A4252
	s_cselect_b32 s21, s36, s60                                // 000000006294: 85153C24
	s_mov_b64 exec, s[20:21]                                   // 000000006298: BEFE0114
	global_atomic_add_f32 v6, v70, s[8:9] offset:8             // 00000000629C: DD348008 00084606
	global_atomic_add_f32 v6, v74, s[8:9] offset:264           // 0000000062A4: DD348108 00084A06
	s_mov_b64 exec, s[36:37]                                   // 0000000062AC: BEFE0124
	v_mov_b32_e32 v6, v51                                      // 0000000062B0: 7E0C0333
	s_mov_b64 s[60:61], 0                                      // 0000000062B4: BEBC0180
	v_readlane_b32 s82, v3, 6                                  // 0000000062B8: D2890052 00010D03
	s_and_b32 s82, s82, 0xffffff                               // 0000000062C0: 8652FF52 00FFFFFF
	s_cmp_lt_u32 s82, s66                                      // 0000000062C8: BF0A4252
	s_cselect_b32 s20, s36, s60                                // 0000000062CC: 85143C24
	v_readlane_b32 s82, v3, 7                                  // 0000000062D0: D2890052 00010F03
	s_and_b32 s82, s82, 0xffffff                               // 0000000062D8: 8652FF52 00FFFFFF
	s_cmp_lt_u32 s82, s66                                      // 0000000062E0: BF0A4252
	s_cselect_b32 s21, s36, s60                                // 0000000062E4: 85153C24
	s_mov_b64 exec, s[20:21]                                   // 0000000062E8: BEFE0114
	global_atomic_add_f32 v6, v71, s[8:9] offset:8             // 0000000062EC: DD348008 00084706
	global_atomic_add_f32 v6, v75, s[8:9] offset:264           // 0000000062F4: DD348108 00084B06
	s_mov_b64 exec, s[36:37]                                   // 0000000062FC: BEFE0124
	v_mov_b32_e32 v6, v52                                      // 000000006300: 7E0C0334
	s_mov_b64 s[60:61], 0                                      // 000000006304: BEBC0180
	v_readlane_b32 s82, v3, 8                                  // 000000006308: D2890052 00011103
	s_and_b32 s82, s82, 0xffffff                               // 000000006310: 8652FF52 00FFFFFF
	s_cmp_lt_u32 s82, s66                                      // 000000006318: BF0A4252
	s_cselect_b32 s20, s36, s60                                // 00000000631C: 85143C24
	v_readlane_b32 s82, v3, 9                                  // 000000006320: D2890052 00011303
	s_and_b32 s82, s82, 0xffffff                               // 000000006328: 8652FF52 00FFFFFF
	s_cmp_lt_u32 s82, s66                                      // 000000006330: BF0A4252
	s_cselect_b32 s21, s36, s60                                // 000000006334: 85153C24
	s_mov_b64 exec, s[20:21]                                   // 000000006338: BEFE0114
	global_atomic_add_f32 v6, v78, s[8:9] offset:8             // 00000000633C: DD348008 00084E06
	global_atomic_add_f32 v6, v82, s[8:9] offset:264           // 000000006344: DD348108 00085206
	s_mov_b64 exec, s[36:37]                                   // 00000000634C: BEFE0124
	v_mov_b32_e32 v6, v53                                      // 000000006350: 7E0C0335
	s_mov_b64 s[60:61], 0                                      // 000000006354: BEBC0180
	v_readlane_b32 s82, v3, 10                                 // 000000006358: D2890052 00011503
	s_and_b32 s82, s82, 0xffffff                               // 000000006360: 8652FF52 00FFFFFF
	s_cmp_lt_u32 s82, s66                                      // 000000006368: BF0A4252
	s_cselect_b32 s20, s36, s60                                // 00000000636C: 85143C24
	v_readlane_b32 s82, v3, 11                                 // 000000006370: D2890052 00011703
	s_and_b32 s82, s82, 0xffffff                               // 000000006378: 8652FF52 00FFFFFF
	s_cmp_lt_u32 s82, s66                                      // 000000006380: BF0A4252
	s_cselect_b32 s21, s36, s60                                // 000000006384: 85153C24
	s_mov_b64 exec, s[20:21]                                   // 000000006388: BEFE0114
	global_atomic_add_f32 v6, v79, s[8:9] offset:8             // 00000000638C: DD348008 00084F06
	global_atomic_add_f32 v6, v83, s[8:9] offset:264           // 000000006394: DD348108 00085306
	s_mov_b64 exec, s[36:37]                                   // 00000000639C: BEFE0124
	v_mov_b32_e32 v6, v54                                      // 0000000063A0: 7E0C0336
	s_mov_b64 s[60:61], 0                                      // 0000000063A4: BEBC0180
	v_readlane_b32 s82, v3, 12                                 // 0000000063A8: D2890052 00011903
	s_and_b32 s82, s82, 0xffffff                               // 0000000063B0: 8652FF52 00FFFFFF
	s_cmp_lt_u32 s82, s66                                      // 0000000063B8: BF0A4252
	s_cselect_b32 s20, s36, s60                                // 0000000063BC: 85143C24
	v_readlane_b32 s82, v3, 13                                 // 0000000063C0: D2890052 00011B03
	s_and_b32 s82, s82, 0xffffff                               // 0000000063C8: 8652FF52 00FFFFFF
	s_cmp_lt_u32 s82, s66                                      // 0000000063D0: BF0A4252
	s_cselect_b32 s21, s36, s60                                // 0000000063D4: 85153C24
	s_mov_b64 exec, s[20:21]                                   // 0000000063D8: BEFE0114
	global_atomic_add_f32 v6, v86, s[8:9] offset:8             // 0000000063DC: DD348008 00085606
	global_atomic_add_f32 v6, v90, s[8:9] offset:264           // 0000000063E4: DD348108 00085A06
	s_mov_b64 exec, s[36:37]                                   // 0000000063EC: BEFE0124
	v_mov_b32_e32 v6, v55                                      // 0000000063F0: 7E0C0337
	s_mov_b64 s[60:61], 0                                      // 0000000063F4: BEBC0180
	v_readlane_b32 s82, v3, 14                                 // 0000000063F8: D2890052 00011D03
	s_and_b32 s82, s82, 0xffffff                               // 000000006400: 8652FF52 00FFFFFF
	s_cmp_lt_u32 s82, s66                                      // 000000006408: BF0A4252
	s_cselect_b32 s20, s36, s60                                // 00000000640C: 85143C24
	v_readlane_b32 s82, v3, 15                                 // 000000006410: D2890052 00011F03
	s_and_b32 s82, s82, 0xffffff                               // 000000006418: 8652FF52 00FFFFFF
	s_cmp_lt_u32 s82, s66                                      // 000000006420: BF0A4252
	s_cselect_b32 s21, s36, s60                                // 000000006424: 85153C24
	s_mov_b64 exec, s[20:21]                                   // 000000006428: BEFE0114
	global_atomic_add_f32 v6, v87, s[8:9] offset:8             // 00000000642C: DD348008 00085706
	global_atomic_add_f32 v6, v91, s[8:9] offset:264           // 000000006434: DD348108 00085B06
	s_mov_b64 exec, s[36:37]                                   // 00000000643C: BEFE0124
	v_mov_b32_e32 v6, v56                                      // 000000006440: 7E0C0338
	s_mov_b64 s[60:61], 0                                      // 000000006444: BEBC0180
	v_readlane_b32 s82, v3, 16                                 // 000000006448: D2890052 00012103
	s_and_b32 s82, s82, 0xffffff                               // 000000006450: 8652FF52 00FFFFFF
	s_cmp_lt_u32 s82, s66                                      // 000000006458: BF0A4252
	s_cselect_b32 s20, s36, s60                                // 00000000645C: 85143C24
	v_readlane_b32 s82, v3, 17                                 // 000000006460: D2890052 00012303
	s_and_b32 s82, s82, 0xffffff                               // 000000006468: 8652FF52 00FFFFFF
	s_cmp_lt_u32 s82, s66                                      // 000000006470: BF0A4252
	s_cselect_b32 s21, s36, s60                                // 000000006474: 85153C24
	s_mov_b64 exec, s[20:21]                                   // 000000006478: BEFE0114
	global_atomic_add_f32 v6, v94, s[8:9] offset:8             // 00000000647C: DD348008 00085E06
	global_atomic_add_f32 v6, v98, s[8:9] offset:264           // 000000006484: DD348108 00086206
	s_mov_b64 exec, s[36:37]                                   // 00000000648C: BEFE0124
	v_mov_b32_e32 v6, v57                                      // 000000006490: 7E0C0339
	s_mov_b64 s[60:61], 0                                      // 000000006494: BEBC0180
	v_readlane_b32 s82, v3, 18                                 // 000000006498: D2890052 00012503
	s_and_b32 s82, s82, 0xffffff                               // 0000000064A0: 8652FF52 00FFFFFF
	s_cmp_lt_u32 s82, s66                                      // 0000000064A8: BF0A4252
	s_cselect_b32 s20, s36, s60                                // 0000000064AC: 85143C24
	v_readlane_b32 s82, v3, 19                                 // 0000000064B0: D2890052 00012703
	s_and_b32 s82, s82, 0xffffff                               // 0000000064B8: 8652FF52 00FFFFFF
	s_cmp_lt_u32 s82, s66                                      // 0000000064C0: BF0A4252
	s_cselect_b32 s21, s36, s60                                // 0000000064C4: 85153C24
	s_mov_b64 exec, s[20:21]                                   // 0000000064C8: BEFE0114
	global_atomic_add_f32 v6, v95, s[8:9] offset:8             // 0000000064CC: DD348008 00085F06
	global_atomic_add_f32 v6, v99, s[8:9] offset:264           // 0000000064D4: DD348108 00086306
	s_mov_b64 exec, s[36:37]                                   // 0000000064DC: BEFE0124
	ds_write_b64 v20, v[100:101]                               // 0000000064E0: D89A0000 00006414
	ds_write_b64 v20, v[104:105] offset:4352                   // 0000000064E8: D89A1100 00006814
	ds_write_b64 v20, v[108:109] offset:8704                   // 0000000064F0: D89A2200 00006C14
	ds_write_b64 v20, v[112:113] offset:13056                  // 0000000064F8: D89A3300 00007014
	ds_write_b64 v20, v[116:117] offset:17408                  // 000000006500: D89A4400 00007414
	ds_write_b64 v20, v[120:121] offset:2176                   // 000000006508: D89A0880 00007814
	ds_write_b64 v20, v[124:125] offset:6528                   // 000000006510: D89A1980 00007C14
	ds_write_b64 v20, v[128:129] offset:10880                  // 000000006518: D89A2A80 00008014
	ds_write_b64 v20, v[132:133] offset:15232                  // 000000006520: D89A3B80 00008414
	ds_write_b64 v20, v[136:137] offset:19584                  // 000000006528: D89A4C80 00008814
	s_waitcnt lgkmcnt(0)                                       // 000000006530: BF8CC07F
	s_barrier                                                  // 000000006534: BF8A0000
	ds_read_b32 v100, v21                                      // 000000006538: D86C0000 64000015
	ds_read_b32 v101, v21 offset:64                            // 000000006540: D86C0040 65000015
	ds_read_b32 v104, v21 offset:2176                          // 000000006548: D86C0880 68000015
	ds_read_b32 v105, v21 offset:2240                          // 000000006550: D86C08C0 69000015
	ds_read_b32 v108, v21 offset:4352                          // 000000006558: D86C1100 6C000015
	ds_read_b32 v109, v21 offset:4416                          // 000000006560: D86C1140 6D000015
	ds_read_b32 v112, v21 offset:6528                          // 000000006568: D86C1980 70000015
	ds_read_b32 v113, v21 offset:6592                          // 000000006570: D86C19C0 71000015
	ds_read_b32 v116, v21 offset:8704                          // 000000006578: D86C2200 74000015
	ds_read_b32 v117, v21 offset:8768                          // 000000006580: D86C2240 75000015
	ds_read_b32 v120, v21 offset:10880                         // 000000006588: D86C2A80 78000015
	ds_read_b32 v121, v21 offset:10944                         // 000000006590: D86C2AC0 79000015
	ds_read_b32 v124, v21 offset:13056                         // 000000006598: D86C3300 7C000015
	ds_read_b32 v125, v21 offset:13120                         // 0000000065A0: D86C3340 7D000015
	ds_read_b32 v128, v21 offset:15232                         // 0000000065A8: D86C3B80 80000015
	ds_read_b32 v129, v21 offset:15296                         // 0000000065B0: D86C3BC0 81000015
	ds_read_b32 v132, v21 offset:17408                         // 0000000065B8: D86C4400 84000015
	ds_read_b32 v133, v21 offset:17472                         // 0000000065C0: D86C4440 85000015
	ds_read_b32 v136, v21 offset:19584                         // 0000000065C8: D86C4C80 88000015
	ds_read_b32 v137, v21 offset:19648                         // 0000000065D0: D86C4CC0 89000015
	s_mul_i32 s60, s65, 4                                      // 0000000065D8: 923C8441
	s_add_u32 s8, s60, s8                                      // 0000000065DC: 8008083C
	s_addc_u32 s9, 0, s9                                       // 0000000065E0: 82090980
	s_waitcnt lgkmcnt(0)                                       // 0000000065E4: BF8CC07F
	v_mov_b32_e32 v7, 0                                        // 0000000065E8: 7E0E0280
	s_mov_b64 exec, s[36:37]                                   // 0000000065EC: BEFE0124
	v_mov_b32_e32 v6, v48                                      // 0000000065F0: 7E0C0330
	s_mov_b64 s[60:61], 0                                      // 0000000065F4: BEBC0180
	v_readlane_b32 s82, v3, 0                                  // 0000000065F8: D2890052 00010103
	s_and_b32 s82, s82, 0xffffff                               // 000000006600: 8652FF52 00FFFFFF
	s_cmp_lt_u32 s82, s66                                      // 000000006608: BF0A4252
	s_cselect_b32 s20, s36, s60                                // 00000000660C: 85143C24
	v_readlane_b32 s82, v3, 1                                  // 000000006610: D2890052 00010303
	s_and_b32 s82, s82, 0xffffff                               // 000000006618: 8652FF52 00FFFFFF
	s_cmp_lt_u32 s82, s66                                      // 000000006620: BF0A4252
	s_cselect_b32 s21, s36, s60                                // 000000006624: 85153C24
	s_mov_b64 exec, s[20:21]                                   // 000000006628: BEFE0114
	global_atomic_add_f32 v6, v100, s[8:9]                     // 00000000662C: DD348000 00086406
	global_atomic_add_f32 v6, v104, s[8:9] offset:256          // 000000006634: DD348100 00086806
	s_mov_b64 exec, s[36:37]                                   // 00000000663C: BEFE0124
	v_mov_b32_e32 v6, v49                                      // 000000006640: 7E0C0331
	s_mov_b64 s[60:61], 0                                      // 000000006644: BEBC0180
	v_readlane_b32 s82, v3, 2                                  // 000000006648: D2890052 00010503
	s_and_b32 s82, s82, 0xffffff                               // 000000006650: 8652FF52 00FFFFFF
	s_cmp_lt_u32 s82, s66                                      // 000000006658: BF0A4252
	s_cselect_b32 s20, s36, s60                                // 00000000665C: 85143C24
	v_readlane_b32 s82, v3, 3                                  // 000000006660: D2890052 00010703
	s_and_b32 s82, s82, 0xffffff                               // 000000006668: 8652FF52 00FFFFFF
	s_cmp_lt_u32 s82, s66                                      // 000000006670: BF0A4252
	s_cselect_b32 s21, s36, s60                                // 000000006674: 85153C24
	s_mov_b64 exec, s[20:21]                                   // 000000006678: BEFE0114
	global_atomic_add_f32 v6, v101, s[8:9]                     // 00000000667C: DD348000 00086506
	global_atomic_add_f32 v6, v105, s[8:9] offset:256          // 000000006684: DD348100 00086906
	s_mov_b64 exec, s[36:37]                                   // 00000000668C: BEFE0124
	v_mov_b32_e32 v6, v50                                      // 000000006690: 7E0C0332
	s_mov_b64 s[60:61], 0                                      // 000000006694: BEBC0180
	v_readlane_b32 s82, v3, 4                                  // 000000006698: D2890052 00010903
	s_and_b32 s82, s82, 0xffffff                               // 0000000066A0: 8652FF52 00FFFFFF
	s_cmp_lt_u32 s82, s66                                      // 0000000066A8: BF0A4252
	s_cselect_b32 s20, s36, s60                                // 0000000066AC: 85143C24
	v_readlane_b32 s82, v3, 5                                  // 0000000066B0: D2890052 00010B03
	s_and_b32 s82, s82, 0xffffff                               // 0000000066B8: 8652FF52 00FFFFFF
	s_cmp_lt_u32 s82, s66                                      // 0000000066C0: BF0A4252
	s_cselect_b32 s21, s36, s60                                // 0000000066C4: 85153C24
	s_mov_b64 exec, s[20:21]                                   // 0000000066C8: BEFE0114
	global_atomic_add_f32 v6, v108, s[8:9]                     // 0000000066CC: DD348000 00086C06
	global_atomic_add_f32 v6, v112, s[8:9] offset:256          // 0000000066D4: DD348100 00087006
	s_mov_b64 exec, s[36:37]                                   // 0000000066DC: BEFE0124
	v_mov_b32_e32 v6, v51                                      // 0000000066E0: 7E0C0333
	s_mov_b64 s[60:61], 0                                      // 0000000066E4: BEBC0180
	v_readlane_b32 s82, v3, 6                                  // 0000000066E8: D2890052 00010D03
	s_and_b32 s82, s82, 0xffffff                               // 0000000066F0: 8652FF52 00FFFFFF
	s_cmp_lt_u32 s82, s66                                      // 0000000066F8: BF0A4252
	s_cselect_b32 s20, s36, s60                                // 0000000066FC: 85143C24
	v_readlane_b32 s82, v3, 7                                  // 000000006700: D2890052 00010F03
	s_and_b32 s82, s82, 0xffffff                               // 000000006708: 8652FF52 00FFFFFF
	s_cmp_lt_u32 s82, s66                                      // 000000006710: BF0A4252
	s_cselect_b32 s21, s36, s60                                // 000000006714: 85153C24
	s_mov_b64 exec, s[20:21]                                   // 000000006718: BEFE0114
	global_atomic_add_f32 v6, v109, s[8:9]                     // 00000000671C: DD348000 00086D06
	global_atomic_add_f32 v6, v113, s[8:9] offset:256          // 000000006724: DD348100 00087106
	s_mov_b64 exec, s[36:37]                                   // 00000000672C: BEFE0124
	v_mov_b32_e32 v6, v52                                      // 000000006730: 7E0C0334
	s_mov_b64 s[60:61], 0                                      // 000000006734: BEBC0180
	v_readlane_b32 s82, v3, 8                                  // 000000006738: D2890052 00011103
	s_and_b32 s82, s82, 0xffffff                               // 000000006740: 8652FF52 00FFFFFF
	s_cmp_lt_u32 s82, s66                                      // 000000006748: BF0A4252
	s_cselect_b32 s20, s36, s60                                // 00000000674C: 85143C24
	v_readlane_b32 s82, v3, 9                                  // 000000006750: D2890052 00011303
	s_and_b32 s82, s82, 0xffffff                               // 000000006758: 8652FF52 00FFFFFF
	s_cmp_lt_u32 s82, s66                                      // 000000006760: BF0A4252
	s_cselect_b32 s21, s36, s60                                // 000000006764: 85153C24
	s_mov_b64 exec, s[20:21]                                   // 000000006768: BEFE0114
	global_atomic_add_f32 v6, v116, s[8:9]                     // 00000000676C: DD348000 00087406
	global_atomic_add_f32 v6, v120, s[8:9] offset:256          // 000000006774: DD348100 00087806
	s_mov_b64 exec, s[36:37]                                   // 00000000677C: BEFE0124
	v_mov_b32_e32 v6, v53                                      // 000000006780: 7E0C0335
	s_mov_b64 s[60:61], 0                                      // 000000006784: BEBC0180
	v_readlane_b32 s82, v3, 10                                 // 000000006788: D2890052 00011503
	s_and_b32 s82, s82, 0xffffff                               // 000000006790: 8652FF52 00FFFFFF
	s_cmp_lt_u32 s82, s66                                      // 000000006798: BF0A4252
	s_cselect_b32 s20, s36, s60                                // 00000000679C: 85143C24
	v_readlane_b32 s82, v3, 11                                 // 0000000067A0: D2890052 00011703
	s_and_b32 s82, s82, 0xffffff                               // 0000000067A8: 8652FF52 00FFFFFF
	s_cmp_lt_u32 s82, s66                                      // 0000000067B0: BF0A4252
	s_cselect_b32 s21, s36, s60                                // 0000000067B4: 85153C24
	s_mov_b64 exec, s[20:21]                                   // 0000000067B8: BEFE0114
	global_atomic_add_f32 v6, v117, s[8:9]                     // 0000000067BC: DD348000 00087506
	global_atomic_add_f32 v6, v121, s[8:9] offset:256          // 0000000067C4: DD348100 00087906
	s_mov_b64 exec, s[36:37]                                   // 0000000067CC: BEFE0124
	v_mov_b32_e32 v6, v54                                      // 0000000067D0: 7E0C0336
	s_mov_b64 s[60:61], 0                                      // 0000000067D4: BEBC0180
	v_readlane_b32 s82, v3, 12                                 // 0000000067D8: D2890052 00011903
	s_and_b32 s82, s82, 0xffffff                               // 0000000067E0: 8652FF52 00FFFFFF
	s_cmp_lt_u32 s82, s66                                      // 0000000067E8: BF0A4252
	s_cselect_b32 s20, s36, s60                                // 0000000067EC: 85143C24
	v_readlane_b32 s82, v3, 13                                 // 0000000067F0: D2890052 00011B03
	s_and_b32 s82, s82, 0xffffff                               // 0000000067F8: 8652FF52 00FFFFFF
	s_cmp_lt_u32 s82, s66                                      // 000000006800: BF0A4252
	s_cselect_b32 s21, s36, s60                                // 000000006804: 85153C24
	s_mov_b64 exec, s[20:21]                                   // 000000006808: BEFE0114
	global_atomic_add_f32 v6, v124, s[8:9]                     // 00000000680C: DD348000 00087C06
	global_atomic_add_f32 v6, v128, s[8:9] offset:256          // 000000006814: DD348100 00088006
	s_mov_b64 exec, s[36:37]                                   // 00000000681C: BEFE0124
	v_mov_b32_e32 v6, v55                                      // 000000006820: 7E0C0337
	s_mov_b64 s[60:61], 0                                      // 000000006824: BEBC0180
	v_readlane_b32 s82, v3, 14                                 // 000000006828: D2890052 00011D03
	s_and_b32 s82, s82, 0xffffff                               // 000000006830: 8652FF52 00FFFFFF
	s_cmp_lt_u32 s82, s66                                      // 000000006838: BF0A4252
	s_cselect_b32 s20, s36, s60                                // 00000000683C: 85143C24
	v_readlane_b32 s82, v3, 15                                 // 000000006840: D2890052 00011F03
	s_and_b32 s82, s82, 0xffffff                               // 000000006848: 8652FF52 00FFFFFF
	s_cmp_lt_u32 s82, s66                                      // 000000006850: BF0A4252
	s_cselect_b32 s21, s36, s60                                // 000000006854: 85153C24
	s_mov_b64 exec, s[20:21]                                   // 000000006858: BEFE0114
	global_atomic_add_f32 v6, v125, s[8:9]                     // 00000000685C: DD348000 00087D06
	global_atomic_add_f32 v6, v129, s[8:9] offset:256          // 000000006864: DD348100 00088106
	s_mov_b64 exec, s[36:37]                                   // 00000000686C: BEFE0124
	v_mov_b32_e32 v6, v56                                      // 000000006870: 7E0C0338
	s_mov_b64 s[60:61], 0                                      // 000000006874: BEBC0180
	v_readlane_b32 s82, v3, 16                                 // 000000006878: D2890052 00012103
	s_and_b32 s82, s82, 0xffffff                               // 000000006880: 8652FF52 00FFFFFF
	s_cmp_lt_u32 s82, s66                                      // 000000006888: BF0A4252
	s_cselect_b32 s20, s36, s60                                // 00000000688C: 85143C24
	v_readlane_b32 s82, v3, 17                                 // 000000006890: D2890052 00012303
	s_and_b32 s82, s82, 0xffffff                               // 000000006898: 8652FF52 00FFFFFF
	s_cmp_lt_u32 s82, s66                                      // 0000000068A0: BF0A4252
	s_cselect_b32 s21, s36, s60                                // 0000000068A4: 85153C24
	s_mov_b64 exec, s[20:21]                                   // 0000000068A8: BEFE0114
	global_atomic_add_f32 v6, v132, s[8:9]                     // 0000000068AC: DD348000 00088406
	global_atomic_add_f32 v6, v136, s[8:9] offset:256          // 0000000068B4: DD348100 00088806
	s_mov_b64 exec, s[36:37]                                   // 0000000068BC: BEFE0124
	v_mov_b32_e32 v6, v57                                      // 0000000068C0: 7E0C0339
	s_mov_b64 s[60:61], 0                                      // 0000000068C4: BEBC0180
	v_readlane_b32 s82, v3, 18                                 // 0000000068C8: D2890052 00012503
	s_and_b32 s82, s82, 0xffffff                               // 0000000068D0: 8652FF52 00FFFFFF
	s_cmp_lt_u32 s82, s66                                      // 0000000068D8: BF0A4252
	s_cselect_b32 s20, s36, s60                                // 0000000068DC: 85143C24
	v_readlane_b32 s82, v3, 19                                 // 0000000068E0: D2890052 00012703
	s_and_b32 s82, s82, 0xffffff                               // 0000000068E8: 8652FF52 00FFFFFF
	s_cmp_lt_u32 s82, s66                                      // 0000000068F0: BF0A4252
	s_cselect_b32 s21, s36, s60                                // 0000000068F4: 85153C24
	s_mov_b64 exec, s[20:21]                                   // 0000000068F8: BEFE0114
	global_atomic_add_f32 v6, v133, s[8:9]                     // 0000000068FC: DD348000 00088506
	global_atomic_add_f32 v6, v137, s[8:9] offset:256          // 000000006904: DD348100 00088906
	s_mov_b64 exec, s[36:37]                                   // 00000000690C: BEFE0124
	ds_write_b64 v20, v[102:103]                               // 000000006910: D89A0000 00006614
	ds_write_b64 v20, v[106:107] offset:4352                   // 000000006918: D89A1100 00006A14
	ds_write_b64 v20, v[110:111] offset:8704                   // 000000006920: D89A2200 00006E14
	ds_write_b64 v20, v[114:115] offset:13056                  // 000000006928: D89A3300 00007214
	ds_write_b64 v20, v[118:119] offset:17408                  // 000000006930: D89A4400 00007614
	ds_write_b64 v20, v[122:123] offset:2176                   // 000000006938: D89A0880 00007A14
	ds_write_b64 v20, v[126:127] offset:6528                   // 000000006940: D89A1980 00007E14
	ds_write_b64 v20, v[130:131] offset:10880                  // 000000006948: D89A2A80 00008214
	ds_write_b64 v20, v[134:135] offset:15232                  // 000000006950: D89A3B80 00008614
	ds_write_b64 v20, v[138:139] offset:19584                  // 000000006958: D89A4C80 00008A14
	s_waitcnt lgkmcnt(0)                                       // 000000006960: BF8CC07F
	s_barrier                                                  // 000000006964: BF8A0000
	ds_read_b32 v102, v21                                      // 000000006968: D86C0000 66000015
	ds_read_b32 v103, v21 offset:64                            // 000000006970: D86C0040 67000015
	ds_read_b32 v106, v21 offset:2176                          // 000000006978: D86C0880 6A000015
	ds_read_b32 v107, v21 offset:2240                          // 000000006980: D86C08C0 6B000015
	ds_read_b32 v110, v21 offset:4352                          // 000000006988: D86C1100 6E000015
	ds_read_b32 v111, v21 offset:4416                          // 000000006990: D86C1140 6F000015
	ds_read_b32 v114, v21 offset:6528                          // 000000006998: D86C1980 72000015
	ds_read_b32 v115, v21 offset:6592                          // 0000000069A0: D86C19C0 73000015
	ds_read_b32 v118, v21 offset:8704                          // 0000000069A8: D86C2200 76000015
	ds_read_b32 v119, v21 offset:8768                          // 0000000069B0: D86C2240 77000015
	ds_read_b32 v122, v21 offset:10880                         // 0000000069B8: D86C2A80 7A000015
	ds_read_b32 v123, v21 offset:10944                         // 0000000069C0: D86C2AC0 7B000015
	ds_read_b32 v126, v21 offset:13056                         // 0000000069C8: D86C3300 7E000015
	ds_read_b32 v127, v21 offset:13120                         // 0000000069D0: D86C3340 7F000015
	ds_read_b32 v130, v21 offset:15232                         // 0000000069D8: D86C3B80 82000015
	ds_read_b32 v131, v21 offset:15296                         // 0000000069E0: D86C3BC0 83000015
	ds_read_b32 v134, v21 offset:17408                         // 0000000069E8: D86C4400 86000015
	ds_read_b32 v135, v21 offset:17472                         // 0000000069F0: D86C4440 87000015
	ds_read_b32 v138, v21 offset:19584                         // 0000000069F8: D86C4C80 8A000015
	ds_read_b32 v139, v21 offset:19648                         // 000000006A00: D86C4CC0 8B000015
	s_waitcnt lgkmcnt(0)                                       // 000000006A08: BF8CC07F
	v_mov_b32_e32 v7, 0                                        // 000000006A0C: 7E0E0280
	s_mov_b64 exec, s[36:37]                                   // 000000006A10: BEFE0124
	v_mov_b32_e32 v6, v48                                      // 000000006A14: 7E0C0330
	s_mov_b64 s[60:61], 0                                      // 000000006A18: BEBC0180
	v_readlane_b32 s82, v3, 0                                  // 000000006A1C: D2890052 00010103
	s_and_b32 s82, s82, 0xffffff                               // 000000006A24: 8652FF52 00FFFFFF
	s_cmp_lt_u32 s82, s66                                      // 000000006A2C: BF0A4252
	s_cselect_b32 s20, s36, s60                                // 000000006A30: 85143C24
	v_readlane_b32 s82, v3, 1                                  // 000000006A34: D2890052 00010303
	s_and_b32 s82, s82, 0xffffff                               // 000000006A3C: 8652FF52 00FFFFFF
	s_cmp_lt_u32 s82, s66                                      // 000000006A44: BF0A4252
	s_cselect_b32 s21, s36, s60                                // 000000006A48: 85153C24
	s_mov_b64 exec, s[20:21]                                   // 000000006A4C: BEFE0114
	global_atomic_add_f32 v6, v102, s[8:9] offset:8            // 000000006A50: DD348008 00086606
	global_atomic_add_f32 v6, v106, s[8:9] offset:264          // 000000006A58: DD348108 00086A06
	s_mov_b64 exec, s[36:37]                                   // 000000006A60: BEFE0124
	v_mov_b32_e32 v6, v49                                      // 000000006A64: 7E0C0331
	s_mov_b64 s[60:61], 0                                      // 000000006A68: BEBC0180
	v_readlane_b32 s82, v3, 2                                  // 000000006A6C: D2890052 00010503
	s_and_b32 s82, s82, 0xffffff                               // 000000006A74: 8652FF52 00FFFFFF
	s_cmp_lt_u32 s82, s66                                      // 000000006A7C: BF0A4252
	s_cselect_b32 s20, s36, s60                                // 000000006A80: 85143C24
	v_readlane_b32 s82, v3, 3                                  // 000000006A84: D2890052 00010703
	s_and_b32 s82, s82, 0xffffff                               // 000000006A8C: 8652FF52 00FFFFFF
	s_cmp_lt_u32 s82, s66                                      // 000000006A94: BF0A4252
	s_cselect_b32 s21, s36, s60                                // 000000006A98: 85153C24
	s_mov_b64 exec, s[20:21]                                   // 000000006A9C: BEFE0114
	global_atomic_add_f32 v6, v103, s[8:9] offset:8            // 000000006AA0: DD348008 00086706
	global_atomic_add_f32 v6, v107, s[8:9] offset:264          // 000000006AA8: DD348108 00086B06
	s_mov_b64 exec, s[36:37]                                   // 000000006AB0: BEFE0124
	v_mov_b32_e32 v6, v50                                      // 000000006AB4: 7E0C0332
	s_mov_b64 s[60:61], 0                                      // 000000006AB8: BEBC0180
	v_readlane_b32 s82, v3, 4                                  // 000000006ABC: D2890052 00010903
	s_and_b32 s82, s82, 0xffffff                               // 000000006AC4: 8652FF52 00FFFFFF
	s_cmp_lt_u32 s82, s66                                      // 000000006ACC: BF0A4252
	s_cselect_b32 s20, s36, s60                                // 000000006AD0: 85143C24
	v_readlane_b32 s82, v3, 5                                  // 000000006AD4: D2890052 00010B03
	s_and_b32 s82, s82, 0xffffff                               // 000000006ADC: 8652FF52 00FFFFFF
	s_cmp_lt_u32 s82, s66                                      // 000000006AE4: BF0A4252
	s_cselect_b32 s21, s36, s60                                // 000000006AE8: 85153C24
	s_mov_b64 exec, s[20:21]                                   // 000000006AEC: BEFE0114
	global_atomic_add_f32 v6, v110, s[8:9] offset:8            // 000000006AF0: DD348008 00086E06
	global_atomic_add_f32 v6, v114, s[8:9] offset:264          // 000000006AF8: DD348108 00087206
	s_mov_b64 exec, s[36:37]                                   // 000000006B00: BEFE0124
	v_mov_b32_e32 v6, v51                                      // 000000006B04: 7E0C0333
	s_mov_b64 s[60:61], 0                                      // 000000006B08: BEBC0180
	v_readlane_b32 s82, v3, 6                                  // 000000006B0C: D2890052 00010D03
	s_and_b32 s82, s82, 0xffffff                               // 000000006B14: 8652FF52 00FFFFFF
	s_cmp_lt_u32 s82, s66                                      // 000000006B1C: BF0A4252
	s_cselect_b32 s20, s36, s60                                // 000000006B20: 85143C24
	v_readlane_b32 s82, v3, 7                                  // 000000006B24: D2890052 00010F03
	s_and_b32 s82, s82, 0xffffff                               // 000000006B2C: 8652FF52 00FFFFFF
	s_cmp_lt_u32 s82, s66                                      // 000000006B34: BF0A4252
	s_cselect_b32 s21, s36, s60                                // 000000006B38: 85153C24
	s_mov_b64 exec, s[20:21]                                   // 000000006B3C: BEFE0114
	global_atomic_add_f32 v6, v111, s[8:9] offset:8            // 000000006B40: DD348008 00086F06
	global_atomic_add_f32 v6, v115, s[8:9] offset:264          // 000000006B48: DD348108 00087306
	s_mov_b64 exec, s[36:37]                                   // 000000006B50: BEFE0124
	v_mov_b32_e32 v6, v52                                      // 000000006B54: 7E0C0334
	s_mov_b64 s[60:61], 0                                      // 000000006B58: BEBC0180
	v_readlane_b32 s82, v3, 8                                  // 000000006B5C: D2890052 00011103
	s_and_b32 s82, s82, 0xffffff                               // 000000006B64: 8652FF52 00FFFFFF
	s_cmp_lt_u32 s82, s66                                      // 000000006B6C: BF0A4252
	s_cselect_b32 s20, s36, s60                                // 000000006B70: 85143C24
	v_readlane_b32 s82, v3, 9                                  // 000000006B74: D2890052 00011303
	s_and_b32 s82, s82, 0xffffff                               // 000000006B7C: 8652FF52 00FFFFFF
	s_cmp_lt_u32 s82, s66                                      // 000000006B84: BF0A4252
	s_cselect_b32 s21, s36, s60                                // 000000006B88: 85153C24
	s_mov_b64 exec, s[20:21]                                   // 000000006B8C: BEFE0114
	global_atomic_add_f32 v6, v118, s[8:9] offset:8            // 000000006B90: DD348008 00087606
	global_atomic_add_f32 v6, v122, s[8:9] offset:264          // 000000006B98: DD348108 00087A06
	s_mov_b64 exec, s[36:37]                                   // 000000006BA0: BEFE0124
	v_mov_b32_e32 v6, v53                                      // 000000006BA4: 7E0C0335
	s_mov_b64 s[60:61], 0                                      // 000000006BA8: BEBC0180
	v_readlane_b32 s82, v3, 10                                 // 000000006BAC: D2890052 00011503
	s_and_b32 s82, s82, 0xffffff                               // 000000006BB4: 8652FF52 00FFFFFF
	s_cmp_lt_u32 s82, s66                                      // 000000006BBC: BF0A4252
	s_cselect_b32 s20, s36, s60                                // 000000006BC0: 85143C24
	v_readlane_b32 s82, v3, 11                                 // 000000006BC4: D2890052 00011703
	s_and_b32 s82, s82, 0xffffff                               // 000000006BCC: 8652FF52 00FFFFFF
	s_cmp_lt_u32 s82, s66                                      // 000000006BD4: BF0A4252
	s_cselect_b32 s21, s36, s60                                // 000000006BD8: 85153C24
	s_mov_b64 exec, s[20:21]                                   // 000000006BDC: BEFE0114
	global_atomic_add_f32 v6, v119, s[8:9] offset:8            // 000000006BE0: DD348008 00087706
	global_atomic_add_f32 v6, v123, s[8:9] offset:264          // 000000006BE8: DD348108 00087B06
	s_mov_b64 exec, s[36:37]                                   // 000000006BF0: BEFE0124
	v_mov_b32_e32 v6, v54                                      // 000000006BF4: 7E0C0336
	s_mov_b64 s[60:61], 0                                      // 000000006BF8: BEBC0180
	v_readlane_b32 s82, v3, 12                                 // 000000006BFC: D2890052 00011903
	s_and_b32 s82, s82, 0xffffff                               // 000000006C04: 8652FF52 00FFFFFF
	s_cmp_lt_u32 s82, s66                                      // 000000006C0C: BF0A4252
	s_cselect_b32 s20, s36, s60                                // 000000006C10: 85143C24
	v_readlane_b32 s82, v3, 13                                 // 000000006C14: D2890052 00011B03
	s_and_b32 s82, s82, 0xffffff                               // 000000006C1C: 8652FF52 00FFFFFF
	s_cmp_lt_u32 s82, s66                                      // 000000006C24: BF0A4252
	s_cselect_b32 s21, s36, s60                                // 000000006C28: 85153C24
	s_mov_b64 exec, s[20:21]                                   // 000000006C2C: BEFE0114
	global_atomic_add_f32 v6, v126, s[8:9] offset:8            // 000000006C30: DD348008 00087E06
	global_atomic_add_f32 v6, v130, s[8:9] offset:264          // 000000006C38: DD348108 00088206
	s_mov_b64 exec, s[36:37]                                   // 000000006C40: BEFE0124
	v_mov_b32_e32 v6, v55                                      // 000000006C44: 7E0C0337
	s_mov_b64 s[60:61], 0                                      // 000000006C48: BEBC0180
	v_readlane_b32 s82, v3, 14                                 // 000000006C4C: D2890052 00011D03
	s_and_b32 s82, s82, 0xffffff                               // 000000006C54: 8652FF52 00FFFFFF
	s_cmp_lt_u32 s82, s66                                      // 000000006C5C: BF0A4252
	s_cselect_b32 s20, s36, s60                                // 000000006C60: 85143C24
	v_readlane_b32 s82, v3, 15                                 // 000000006C64: D2890052 00011F03
	s_and_b32 s82, s82, 0xffffff                               // 000000006C6C: 8652FF52 00FFFFFF
	s_cmp_lt_u32 s82, s66                                      // 000000006C74: BF0A4252
	s_cselect_b32 s21, s36, s60                                // 000000006C78: 85153C24
	s_mov_b64 exec, s[20:21]                                   // 000000006C7C: BEFE0114
	global_atomic_add_f32 v6, v127, s[8:9] offset:8            // 000000006C80: DD348008 00087F06
	global_atomic_add_f32 v6, v131, s[8:9] offset:264          // 000000006C88: DD348108 00088306
	s_mov_b64 exec, s[36:37]                                   // 000000006C90: BEFE0124
	v_mov_b32_e32 v6, v56                                      // 000000006C94: 7E0C0338
	s_mov_b64 s[60:61], 0                                      // 000000006C98: BEBC0180
	v_readlane_b32 s82, v3, 16                                 // 000000006C9C: D2890052 00012103
	s_and_b32 s82, s82, 0xffffff                               // 000000006CA4: 8652FF52 00FFFFFF
	s_cmp_lt_u32 s82, s66                                      // 000000006CAC: BF0A4252
	s_cselect_b32 s20, s36, s60                                // 000000006CB0: 85143C24
	v_readlane_b32 s82, v3, 17                                 // 000000006CB4: D2890052 00012303
	s_and_b32 s82, s82, 0xffffff                               // 000000006CBC: 8652FF52 00FFFFFF
	s_cmp_lt_u32 s82, s66                                      // 000000006CC4: BF0A4252
	s_cselect_b32 s21, s36, s60                                // 000000006CC8: 85153C24
	s_mov_b64 exec, s[20:21]                                   // 000000006CCC: BEFE0114
	global_atomic_add_f32 v6, v134, s[8:9] offset:8            // 000000006CD0: DD348008 00088606
	global_atomic_add_f32 v6, v138, s[8:9] offset:264          // 000000006CD8: DD348108 00088A06
	s_mov_b64 exec, s[36:37]                                   // 000000006CE0: BEFE0124
	v_mov_b32_e32 v6, v57                                      // 000000006CE4: 7E0C0339
	s_mov_b64 s[60:61], 0                                      // 000000006CE8: BEBC0180
	v_readlane_b32 s82, v3, 18                                 // 000000006CEC: D2890052 00012503
	s_and_b32 s82, s82, 0xffffff                               // 000000006CF4: 8652FF52 00FFFFFF
	s_cmp_lt_u32 s82, s66                                      // 000000006CFC: BF0A4252
	s_cselect_b32 s20, s36, s60                                // 000000006D00: 85143C24
	v_readlane_b32 s82, v3, 19                                 // 000000006D04: D2890052 00012703
	s_and_b32 s82, s82, 0xffffff                               // 000000006D0C: 8652FF52 00FFFFFF
	s_cmp_lt_u32 s82, s66                                      // 000000006D14: BF0A4252
	s_cselect_b32 s21, s36, s60                                // 000000006D18: 85153C24
	s_mov_b64 exec, s[20:21]                                   // 000000006D1C: BEFE0114
	global_atomic_add_f32 v6, v135, s[8:9] offset:8            // 000000006D20: DD348008 00088706
	global_atomic_add_f32 v6, v139, s[8:9] offset:264          // 000000006D28: DD348108 00088B06
	s_mov_b64 exec, s[36:37]                                   // 000000006D30: BEFE0124
	s_branch label_1EDA                                        // 000000006D34: BF820E09

0000000000006d38 <label_10D1>:
	s_waitcnt vmcnt(2) lgkmcnt(0)                              // 000000006D38: BF8C0072
	s_barrier                                                  // 000000006D3C: BF8A0000
	v_mfma_f32_16x16x32_fp8_fp8 v[60:63], a[80:81], a[0:1], v[60:63]// 000000006D40: D3F3003C 1CF20150
	buffer_load_dwordx4 a[96:99], v58, s[84:87], 0 offen       // 000000006D48: E05C1000 8095603A
	v_mfma_f32_16x16x32_fp8_fp8 v[60:63], a[82:83], a[2:3], v[60:63]// 000000006D50: D3F3003C 1CF20552
	v_mfma_f32_16x16x32_fp8_fp8 v[60:63], a[84:85], a[4:5], v[60:63]// 000000006D58: D3F3003C 1CF20954
	v_mfma_f32_16x16x32_fp8_fp8 v[60:63], a[86:87], a[6:7], v[60:63]// 000000006D60: D3F3003C 1CF20D56
	v_mfma_f32_16x16x32_fp8_fp8 v[64:67], a[80:81], a[8:9], v[64:67]// 000000006D68: D3F30040 1D021150
	buffer_load_dwordx4 a[100:103], v58, s[84:87], 0 offen offset:1024// 000000006D70: E05C1400 8095643A
	v_mfma_f32_16x16x32_fp8_fp8 v[64:67], a[82:83], a[10:11], v[64:67]// 000000006D78: D3F30040 1D021552
	v_mfma_f32_16x16x32_fp8_fp8 v[64:67], a[84:85], a[12:13], v[64:67]// 000000006D80: D3F30040 1D021954
	v_mfma_f32_16x16x32_fp8_fp8 v[64:67], a[86:87], a[14:15], v[64:67]// 000000006D88: D3F30040 1D021D56
	v_mfma_f32_16x16x32_fp8_fp8 v[68:71], a[80:81], a[16:17], v[68:71]// 000000006D90: D3F30044 1D122150
	buffer_load_dwordx4 a[104:107], v59, s[84:87], 0 offen     // 000000006D98: E05C1000 8095683B
	v_mfma_f32_16x16x32_fp8_fp8 v[68:71], a[82:83], a[18:19], v[68:71]// 000000006DA0: D3F30044 1D122552
	v_mfma_f32_16x16x32_fp8_fp8 v[68:71], a[84:85], a[20:21], v[68:71]// 000000006DA8: D3F30044 1D122954
	v_mfma_f32_16x16x32_fp8_fp8 v[68:71], a[86:87], a[22:23], v[68:71]// 000000006DB0: D3F30044 1D122D56
	v_mfma_f32_16x16x32_fp8_fp8 v[72:75], a[80:81], a[24:25], v[72:75]// 000000006DB8: D3F30048 1D223150
	buffer_load_dwordx4 a[108:111], v59, s[84:87], 0 offen offset:1024// 000000006DC0: E05C1400 80956C3B
	buffer_load_dword v48, s[20:23], 0 offen lds               // 000000006DC8: E0511000 80050030
	s_add_u32 m0, 0x100, s48                                   // 000000006DD0: 807C30FF 00000100
	v_mfma_f32_16x16x32_fp8_fp8 v[72:75], a[82:83], a[26:27], v[72:75]// 000000006DD8: D3F30048 1D223552
	v_mfma_f32_16x16x32_fp8_fp8 v[72:75], a[84:85], a[28:29], v[72:75]// 000000006DE0: D3F30048 1D223954
	buffer_load_dword v49, s[20:23], 0 offen lds               // 000000006DE8: E0511000 80050031
	s_add_u32 m0, 0x200, s48                                   // 000000006DF0: 807C30FF 00000200
	v_mfma_f32_16x16x32_fp8_fp8 v[72:75], a[86:87], a[30:31], v[72:75]// 000000006DF8: D3F30048 1D223D56
	v_mfma_f32_16x16x32_fp8_fp8 v[76:79], a[80:81], a[32:33], v[76:79]// 000000006E00: D3F3004C 1D324150
	buffer_load_dword v50, s[20:23], 0 offen lds               // 000000006E08: E0511000 80050032
	s_add_u32 m0, 0x300, s48                                   // 000000006E10: 807C30FF 00000300
	v_mfma_f32_16x16x32_fp8_fp8 v[76:79], a[82:83], a[34:35], v[76:79]// 000000006E18: D3F3004C 1D324552
	v_mfma_f32_16x16x32_fp8_fp8 v[76:79], a[84:85], a[36:37], v[76:79]// 000000006E20: D3F3004C 1D324954
	buffer_load_dword v51, s[20:23], 0 offen lds               // 000000006E28: E0511000 80050033
	s_add_u32 m0, 0x400, s48                                   // 000000006E30: 807C30FF 00000400
	v_mfma_f32_16x16x32_fp8_fp8 v[76:79], a[86:87], a[38:39], v[76:79]// 000000006E38: D3F3004C 1D324D56
	s_waitcnt vmcnt(8)                                         // 000000006E40: BF8C0F78
	v_mfma_f32_16x16x32_fp8_fp8 v[80:83], a[88:89], a[0:1], v[80:83]// 000000006E44: D3F30050 1D420158
	buffer_load_dword v52, s[20:23], 0 offen lds               // 000000006E4C: E0511000 80050034
	s_add_u32 m0, 0x500, s48                                   // 000000006E54: 807C30FF 00000500
	v_mfma_f32_16x16x32_fp8_fp8 v[80:83], a[90:91], a[2:3], v[80:83]// 000000006E5C: D3F30050 1D42055A
	v_mfma_f32_16x16x32_fp8_fp8 v[80:83], a[92:93], a[4:5], v[80:83]// 000000006E64: D3F30050 1D42095C
	buffer_load_dword v53, s[20:23], 0 offen lds               // 000000006E6C: E0511000 80050035
	s_add_u32 m0, 0x600, s48                                   // 000000006E74: 807C30FF 00000600
	v_mfma_f32_16x16x32_fp8_fp8 v[80:83], a[94:95], a[6:7], v[80:83]// 000000006E7C: D3F30050 1D420D5E
	v_mfma_f32_16x16x32_fp8_fp8 v[84:87], a[88:89], a[8:9], v[84:87]// 000000006E84: D3F30054 1D521158
	buffer_load_dword v54, s[20:23], 0 offen lds               // 000000006E8C: E0511000 80050036
	s_add_u32 m0, 0x700, s48                                   // 000000006E94: 807C30FF 00000700
	v_mfma_f32_16x16x32_fp8_fp8 v[84:87], a[90:91], a[10:11], v[84:87]// 000000006E9C: D3F30054 1D52155A
	v_mfma_f32_16x16x32_fp8_fp8 v[84:87], a[92:93], a[12:13], v[84:87]// 000000006EA4: D3F30054 1D52195C
	buffer_load_dword v55, s[20:23], 0 offen lds               // 000000006EAC: E0511000 80050037
	s_add_u32 m0, 0x800, s48                                   // 000000006EB4: 807C30FF 00000800
	v_mfma_f32_16x16x32_fp8_fp8 v[84:87], a[94:95], a[14:15], v[84:87]// 000000006EBC: D3F30054 1D521D5E
	v_mfma_f32_16x16x32_fp8_fp8 v[88:91], a[88:89], a[16:17], v[88:91]// 000000006EC4: D3F30058 1D622158
	buffer_load_dword v56, s[20:23], 0 offen lds               // 000000006ECC: E0511000 80050038
	s_add_u32 m0, 0x900, s48                                   // 000000006ED4: 807C30FF 00000900
	v_mfma_f32_16x16x32_fp8_fp8 v[88:91], a[90:91], a[18:19], v[88:91]// 000000006EDC: D3F30058 1D62255A
	v_mfma_f32_16x16x32_fp8_fp8 v[88:91], a[92:93], a[20:21], v[88:91]// 000000006EE4: D3F30058 1D62295C
	buffer_load_dword v57, s[20:23], 0 offen lds               // 000000006EEC: E0511000 80050039
	s_add_u32 m0, 0, s49                                       // 000000006EF4: 807C3180
	v_mfma_f32_16x16x32_fp8_fp8 v[88:91], a[94:95], a[22:23], v[88:91]// 000000006EF8: D3F30058 1D622D5E
	v_mfma_f32_16x16x32_fp8_fp8 v[92:95], a[88:89], a[24:25], v[92:95]// 000000006F00: D3F3005C 1D723158
	v_mfma_f32_16x16x32_fp8_fp8 v[92:95], a[90:91], a[26:27], v[92:95]// 000000006F08: D3F3005C 1D72355A
	v_mfma_f32_16x16x32_fp8_fp8 v[92:95], a[92:93], a[28:29], v[92:95]// 000000006F10: D3F3005C 1D72395C
	v_mfma_f32_16x16x32_fp8_fp8 v[92:95], a[94:95], a[30:31], v[92:95]// 000000006F18: D3F3005C 1D723D5E
	v_mfma_f32_16x16x32_fp8_fp8 v[96:99], a[88:89], a[32:33], v[96:99]// 000000006F20: D3F30060 1D824158
	v_mfma_f32_16x16x32_fp8_fp8 v[96:99], a[90:91], a[34:35], v[96:99]// 000000006F28: D3F30060 1D82455A
	s_add_u32 s60, 0x80, s80                                   // 000000006F30: 803C50FF 00000080
	s_cmp_lt_u32 s60, s81                                      // 000000006F38: BF0A513C
	s_cselect_b32 s83, s83, 0                                  // 000000006F3C: 85538053
	v_mfma_f32_16x16x32_fp8_fp8 v[96:99], a[92:93], a[36:37], v[96:99]// 000000006F40: D3F30060 1D82495C
	v_mfma_f32_16x16x32_fp8_fp8 v[96:99], a[94:95], a[38:39], v[96:99]// 000000006F48: D3F30060 1D824D5E
	s_waitcnt vmcnt(10)                                        // 000000006F50: BF8C0F7A
	v_mfma_f32_16x16x32_fp8_fp8 v[100:103], a[96:97], a[0:1], v[100:103]// 000000006F54: D3F30064 1D920160
	buffer_load_dwordx4 a[80:83], v58, s[24:27], 0 offen       // 000000006F5C: E05C1000 8086503A
	v_mfma_f32_16x16x32_fp8_fp8 v[100:103], a[98:99], a[2:3], v[100:103]// 000000006F64: D3F30064 1D920562
	v_mfma_f32_16x16x32_fp8_fp8 v[100:103], a[100:101], a[4:5], v[100:103]// 000000006F6C: D3F30064 1D920964
	ds_read_b128 a[40:43], v2 offset:10368                     // 000000006F74: DBFE2880 28000002
	ds_read_b128 a[44:47], v2 offset:10432                     // 000000006F7C: DBFE28C0 2C000002
	v_mfma_f32_16x16x32_fp8_fp8 v[100:103], a[102:103], a[6:7], v[100:103]// 000000006F84: D3F30064 1D920D66
	v_mfma_f32_16x16x32_fp8_fp8 v[120:123], a[104:105], a[0:1], v[120:123]// 000000006F8C: D3F30078 1DE20168
	buffer_load_dwordx4 a[84:87], v58, s[24:27], 0 offen offset:1024// 000000006F94: E05C1400 8086543A
	v_mfma_f32_16x16x32_fp8_fp8 v[120:123], a[106:107], a[2:3], v[120:123]// 000000006F9C: D3F30078 1DE2056A
	v_mfma_f32_16x16x32_fp8_fp8 v[120:123], a[108:109], a[4:5], v[120:123]// 000000006FA4: D3F30078 1DE2096C
	ds_read_b128 a[48:51], v2 offset:10880                     // 000000006FAC: DBFE2A80 30000002
	ds_read_b128 a[52:55], v2 offset:10944                     // 000000006FB4: DBFE2AC0 34000002
	v_mfma_f32_16x16x32_fp8_fp8 v[120:123], a[110:111], a[6:7], v[120:123]// 000000006FBC: D3F30078 1DE20D6E
	v_mfma_f32_16x16x32_fp8_fp8 v[104:107], a[96:97], a[8:9], v[104:107]// 000000006FC4: D3F30068 1DA21160
	buffer_load_dwordx4 a[88:91], v59, s[24:27], 0 offen       // 000000006FCC: E05C1000 8086583B
	v_mfma_f32_16x16x32_fp8_fp8 v[104:107], a[98:99], a[10:11], v[104:107]// 000000006FD4: D3F30068 1DA21562
	v_mfma_f32_16x16x32_fp8_fp8 v[104:107], a[100:101], a[12:13], v[104:107]// 000000006FDC: D3F30068 1DA21964
	ds_read_b128 a[56:59], v2 offset:11392                     // 000000006FE4: DBFE2C80 38000002
	ds_read_b128 a[60:63], v2 offset:11456                     // 000000006FEC: DBFE2CC0 3C000002
	v_mfma_f32_16x16x32_fp8_fp8 v[104:107], a[102:103], a[14:15], v[104:107]// 000000006FF4: D3F30068 1DA21D66
	v_mfma_f32_16x16x32_fp8_fp8 v[124:127], a[104:105], a[8:9], v[124:127]// 000000006FFC: D3F3007C 1DF21168
	buffer_load_dwordx4 a[92:95], v59, s[24:27], 0 offen offset:1024// 000000007004: E05C1400 80865C3B
	v_mfma_f32_16x16x32_fp8_fp8 v[124:127], a[106:107], a[10:11], v[124:127]// 00000000700C: D3F3007C 1DF2156A
	v_mfma_f32_16x16x32_fp8_fp8 v[124:127], a[108:109], a[12:13], v[124:127]// 000000007014: D3F3007C 1DF2196C
	ds_read_b128 a[64:67], v2 offset:11904                     // 00000000701C: DBFE2E80 40000002
	ds_read_b128 a[68:71], v2 offset:11968                     // 000000007024: DBFE2EC0 44000002
	v_mfma_f32_16x16x32_fp8_fp8 v[124:127], a[110:111], a[14:15], v[124:127]// 00000000702C: D3F3007C 1DF21D6E
	v_mfma_f32_16x16x32_fp8_fp8 v[108:111], a[96:97], a[16:17], v[108:111]// 000000007034: D3F3006C 1DB22160
	v_mfma_f32_16x16x32_fp8_fp8 v[108:111], a[98:99], a[18:19], v[108:111]// 00000000703C: D3F3006C 1DB22562
	v_mfma_f32_16x16x32_fp8_fp8 v[108:111], a[100:101], a[20:21], v[108:111]// 000000007044: D3F3006C 1DB22964
	ds_read_b128 a[72:75], v2 offset:12416                     // 00000000704C: DBFE3080 48000002
	ds_read_b128 a[76:79], v2 offset:12480                     // 000000007054: DBFE30C0 4C000002
	v_mfma_f32_16x16x32_fp8_fp8 v[108:111], a[102:103], a[22:23], v[108:111]// 00000000705C: D3F3006C 1DB22D66
	v_mfma_f32_16x16x32_fp8_fp8 v[128:131], a[104:105], a[16:17], v[128:131]// 000000007064: D3F30080 1E022168
	v_mfma_f32_16x16x32_fp8_fp8 v[128:131], a[106:107], a[18:19], v[128:131]// 00000000706C: D3F30080 1E02256A
	v_mfma_f32_16x16x32_fp8_fp8 v[128:131], a[108:109], a[20:21], v[128:131]// 000000007074: D3F30080 1E02296C
	v_mfma_f32_16x16x32_fp8_fp8 v[128:131], a[110:111], a[22:23], v[128:131]// 00000000707C: D3F30080 1E022D6E
	v_mfma_f32_16x16x32_fp8_fp8 v[112:115], a[96:97], a[24:25], v[112:115]// 000000007084: D3F30070 1DC23160
	v_mfma_f32_16x16x32_fp8_fp8 v[112:115], a[98:99], a[26:27], v[112:115]// 00000000708C: D3F30070 1DC23562
	v_mfma_f32_16x16x32_fp8_fp8 v[112:115], a[100:101], a[28:29], v[112:115]// 000000007094: D3F30070 1DC23964
	v_mfma_f32_16x16x32_fp8_fp8 v[112:115], a[102:103], a[30:31], v[112:115]// 00000000709C: D3F30070 1DC23D66
	v_mfma_f32_16x16x32_fp8_fp8 v[132:135], a[104:105], a[24:25], v[132:135]// 0000000070A4: D3F30084 1E123168
	v_mfma_f32_16x16x32_fp8_fp8 v[132:135], a[106:107], a[26:27], v[132:135]// 0000000070AC: D3F30084 1E12356A
	v_mfma_f32_16x16x32_fp8_fp8 v[132:135], a[108:109], a[28:29], v[132:135]// 0000000070B4: D3F30084 1E12396C
	v_mfma_f32_16x16x32_fp8_fp8 v[132:135], a[110:111], a[30:31], v[132:135]// 0000000070BC: D3F30084 1E123D6E
	v_mfma_f32_16x16x32_fp8_fp8 v[116:119], a[96:97], a[32:33], v[116:119]// 0000000070C4: D3F30074 1DD24160
	v_mfma_f32_16x16x32_fp8_fp8 v[116:119], a[98:99], a[34:35], v[116:119]// 0000000070CC: D3F30074 1DD24562
	v_mfma_f32_16x16x32_fp8_fp8 v[116:119], a[100:101], a[36:37], v[116:119]// 0000000070D4: D3F30074 1DD24964
	s_add_u32 s60, 0x180, s80                                  // 0000000070DC: 803C50FF 00000180
	s_cmp_lt_u32 s60, s81                                      // 0000000070E4: BF0A513C
	s_cselect_b32 s57, s57, 0                                  // 0000000070E8: 85398039
	v_mfma_f32_16x16x32_fp8_fp8 v[116:119], a[102:103], a[38:39], v[116:119]// 0000000070EC: D3F30074 1DD24D66
	s_add_u32 s60, 0x100, s80                                  // 0000000070F4: 803C50FF 00000100
	s_cmp_lt_u32 s60, s81                                      // 0000000070FC: BF0A513C
	s_cselect_b32 s58, s58, 0                                  // 000000007100: 853A803A
	v_mfma_f32_16x16x32_fp8_fp8 v[136:139], a[104:105], a[32:33], v[136:139]// 000000007104: D3F30088 1E224168
	s_add_u32 s24, s58, s24                                    // 00000000710C: 8018183A
	s_addc_u32 s25, 0, s25                                     // 000000007110: 82191980
	v_mfma_f32_16x16x32_fp8_fp8 v[136:139], a[106:107], a[34:35], v[136:139]// 000000007114: D3F30088 1E22456A
	s_add_u32 s20, s57, s20                                    // 00000000711C: 80141439
	s_addc_u32 s21, 0, s21                                     // 000000007120: 82151580
	v_mfma_f32_16x16x32_fp8_fp8 v[136:139], a[108:109], a[36:37], v[136:139]// 000000007124: D3F30088 1E22496C
	s_add_u32 s84, s83, s84                                    // 00000000712C: 80545453
	s_addc_u32 s85, 0, s85                                     // 000000007130: 82555580
	v_mfma_f32_16x16x32_fp8_fp8 v[136:139], a[110:111], a[38:39], v[136:139]// 000000007134: D3F30088 1E224D6E
	s_addk_i32 s80, 0x80                                       // 00000000713C: B7500080
	s_cmp_lt_i32 s80, s81                                      // 000000007140: BF045150
	s_cbranch_scc0 label_12DA                                  // 000000007144: BF840105
	s_waitcnt vmcnt(2) lgkmcnt(0)                              // 000000007148: BF8C0072
	s_barrier                                                  // 00000000714C: BF8A0000
	v_mfma_f32_16x16x32_fp8_fp8 v[60:63], a[80:81], a[40:41], v[60:63]// 000000007150: D3F3003C 1CF25150
	buffer_load_dwordx4 a[96:99], v58, s[84:87], 0 offen       // 000000007158: E05C1000 8095603A
	v_mfma_f32_16x16x32_fp8_fp8 v[60:63], a[82:83], a[42:43], v[60:63]// 000000007160: D3F3003C 1CF25552
	v_mfma_f32_16x16x32_fp8_fp8 v[60:63], a[84:85], a[44:45], v[60:63]// 000000007168: D3F3003C 1CF25954
	v_mfma_f32_16x16x32_fp8_fp8 v[60:63], a[86:87], a[46:47], v[60:63]// 000000007170: D3F3003C 1CF25D56
	v_mfma_f32_16x16x32_fp8_fp8 v[64:67], a[80:81], a[48:49], v[64:67]// 000000007178: D3F30040 1D026150
	buffer_load_dwordx4 a[100:103], v58, s[84:87], 0 offen offset:1024// 000000007180: E05C1400 8095643A
	v_mfma_f32_16x16x32_fp8_fp8 v[64:67], a[82:83], a[50:51], v[64:67]// 000000007188: D3F30040 1D026552
	v_mfma_f32_16x16x32_fp8_fp8 v[64:67], a[84:85], a[52:53], v[64:67]// 000000007190: D3F30040 1D026954
	v_mfma_f32_16x16x32_fp8_fp8 v[64:67], a[86:87], a[54:55], v[64:67]// 000000007198: D3F30040 1D026D56
	v_mfma_f32_16x16x32_fp8_fp8 v[68:71], a[80:81], a[56:57], v[68:71]// 0000000071A0: D3F30044 1D127150
	buffer_load_dwordx4 a[104:107], v59, s[84:87], 0 offen     // 0000000071A8: E05C1000 8095683B
	v_mfma_f32_16x16x32_fp8_fp8 v[68:71], a[82:83], a[58:59], v[68:71]// 0000000071B0: D3F30044 1D127552
	v_mfma_f32_16x16x32_fp8_fp8 v[68:71], a[84:85], a[60:61], v[68:71]// 0000000071B8: D3F30044 1D127954
	v_mfma_f32_16x16x32_fp8_fp8 v[68:71], a[86:87], a[62:63], v[68:71]// 0000000071C0: D3F30044 1D127D56
	v_mfma_f32_16x16x32_fp8_fp8 v[72:75], a[80:81], a[64:65], v[72:75]// 0000000071C8: D3F30048 1D228150
	buffer_load_dwordx4 a[108:111], v59, s[84:87], 0 offen offset:1024// 0000000071D0: E05C1400 80956C3B
	buffer_load_dword v48, s[20:23], 0 offen lds               // 0000000071D8: E0511000 80050030
	s_add_u32 m0, 0x100, s49                                   // 0000000071E0: 807C31FF 00000100
	v_mfma_f32_16x16x32_fp8_fp8 v[72:75], a[82:83], a[66:67], v[72:75]// 0000000071E8: D3F30048 1D228552
	v_mfma_f32_16x16x32_fp8_fp8 v[72:75], a[84:85], a[68:69], v[72:75]// 0000000071F0: D3F30048 1D228954
	buffer_load_dword v49, s[20:23], 0 offen lds               // 0000000071F8: E0511000 80050031
	s_add_u32 m0, 0x200, s49                                   // 000000007200: 807C31FF 00000200
	v_mfma_f32_16x16x32_fp8_fp8 v[72:75], a[86:87], a[70:71], v[72:75]// 000000007208: D3F30048 1D228D56
	v_mfma_f32_16x16x32_fp8_fp8 v[76:79], a[80:81], a[72:73], v[76:79]// 000000007210: D3F3004C 1D329150
	buffer_load_dword v50, s[20:23], 0 offen lds               // 000000007218: E0511000 80050032
	s_add_u32 m0, 0x300, s49                                   // 000000007220: 807C31FF 00000300
	v_mfma_f32_16x16x32_fp8_fp8 v[76:79], a[82:83], a[74:75], v[76:79]// 000000007228: D3F3004C 1D329552
	v_mfma_f32_16x16x32_fp8_fp8 v[76:79], a[84:85], a[76:77], v[76:79]// 000000007230: D3F3004C 1D329954
	buffer_load_dword v51, s[20:23], 0 offen lds               // 000000007238: E0511000 80050033
	s_add_u32 m0, 0x400, s49                                   // 000000007240: 807C31FF 00000400
	v_mfma_f32_16x16x32_fp8_fp8 v[76:79], a[86:87], a[78:79], v[76:79]// 000000007248: D3F3004C 1D329D56
	s_waitcnt vmcnt(8)                                         // 000000007250: BF8C0F78
	v_mfma_f32_16x16x32_fp8_fp8 v[80:83], a[88:89], a[40:41], v[80:83]// 000000007254: D3F30050 1D425158
	buffer_load_dword v52, s[20:23], 0 offen lds               // 00000000725C: E0511000 80050034
	s_add_u32 m0, 0x500, s49                                   // 000000007264: 807C31FF 00000500
	v_mfma_f32_16x16x32_fp8_fp8 v[80:83], a[90:91], a[42:43], v[80:83]// 00000000726C: D3F30050 1D42555A
	v_mfma_f32_16x16x32_fp8_fp8 v[80:83], a[92:93], a[44:45], v[80:83]// 000000007274: D3F30050 1D42595C
	buffer_load_dword v53, s[20:23], 0 offen lds               // 00000000727C: E0511000 80050035
	s_add_u32 m0, 0x600, s49                                   // 000000007284: 807C31FF 00000600
	v_mfma_f32_16x16x32_fp8_fp8 v[80:83], a[94:95], a[46:47], v[80:83]// 00000000728C: D3F30050 1D425D5E
	v_mfma_f32_16x16x32_fp8_fp8 v[84:87], a[88:89], a[48:49], v[84:87]// 000000007294: D3F30054 1D526158
	buffer_load_dword v54, s[20:23], 0 offen lds               // 00000000729C: E0511000 80050036
	s_add_u32 m0, 0x700, s49                                   // 0000000072A4: 807C31FF 00000700
	v_mfma_f32_16x16x32_fp8_fp8 v[84:87], a[90:91], a[50:51], v[84:87]// 0000000072AC: D3F30054 1D52655A
	v_mfma_f32_16x16x32_fp8_fp8 v[84:87], a[92:93], a[52:53], v[84:87]// 0000000072B4: D3F30054 1D52695C
	buffer_load_dword v55, s[20:23], 0 offen lds               // 0000000072BC: E0511000 80050037
	s_add_u32 m0, 0x800, s49                                   // 0000000072C4: 807C31FF 00000800
	v_mfma_f32_16x16x32_fp8_fp8 v[84:87], a[94:95], a[54:55], v[84:87]// 0000000072CC: D3F30054 1D526D5E
	v_mfma_f32_16x16x32_fp8_fp8 v[88:91], a[88:89], a[56:57], v[88:91]// 0000000072D4: D3F30058 1D627158
	buffer_load_dword v56, s[20:23], 0 offen lds               // 0000000072DC: E0511000 80050038
	s_add_u32 m0, 0x900, s49                                   // 0000000072E4: 807C31FF 00000900
	v_mfma_f32_16x16x32_fp8_fp8 v[88:91], a[90:91], a[58:59], v[88:91]// 0000000072EC: D3F30058 1D62755A
	v_mfma_f32_16x16x32_fp8_fp8 v[88:91], a[92:93], a[60:61], v[88:91]// 0000000072F4: D3F30058 1D62795C
	buffer_load_dword v57, s[20:23], 0 offen lds               // 0000000072FC: E0511000 80050039
	s_add_u32 m0, 0, s48                                       // 000000007304: 807C3080
	v_mfma_f32_16x16x32_fp8_fp8 v[88:91], a[94:95], a[62:63], v[88:91]// 000000007308: D3F30058 1D627D5E
	v_mfma_f32_16x16x32_fp8_fp8 v[92:95], a[88:89], a[64:65], v[92:95]// 000000007310: D3F3005C 1D728158
	v_mfma_f32_16x16x32_fp8_fp8 v[92:95], a[90:91], a[66:67], v[92:95]// 000000007318: D3F3005C 1D72855A
	v_mfma_f32_16x16x32_fp8_fp8 v[92:95], a[92:93], a[68:69], v[92:95]// 000000007320: D3F3005C 1D72895C
	v_mfma_f32_16x16x32_fp8_fp8 v[92:95], a[94:95], a[70:71], v[92:95]// 000000007328: D3F3005C 1D728D5E
	v_mfma_f32_16x16x32_fp8_fp8 v[96:99], a[88:89], a[72:73], v[96:99]// 000000007330: D3F30060 1D829158
	v_mfma_f32_16x16x32_fp8_fp8 v[96:99], a[90:91], a[74:75], v[96:99]// 000000007338: D3F30060 1D82955A
	s_add_u32 s60, 0x80, s80                                   // 000000007340: 803C50FF 00000080
	s_cmp_lt_u32 s60, s81                                      // 000000007348: BF0A513C
	s_cselect_b32 s83, s83, 0                                  // 00000000734C: 85538053
	v_mfma_f32_16x16x32_fp8_fp8 v[96:99], a[92:93], a[76:77], v[96:99]// 000000007350: D3F30060 1D82995C
	v_mfma_f32_16x16x32_fp8_fp8 v[96:99], a[94:95], a[78:79], v[96:99]// 000000007358: D3F30060 1D829D5E
	s_waitcnt vmcnt(10)                                        // 000000007360: BF8C0F7A
	v_mfma_f32_16x16x32_fp8_fp8 v[100:103], a[96:97], a[40:41], v[100:103]// 000000007364: D3F30064 1D925160
	buffer_load_dwordx4 a[80:83], v58, s[24:27], 0 offen       // 00000000736C: E05C1000 8086503A
	v_mfma_f32_16x16x32_fp8_fp8 v[100:103], a[98:99], a[42:43], v[100:103]// 000000007374: D3F30064 1D925562
	v_mfma_f32_16x16x32_fp8_fp8 v[100:103], a[100:101], a[44:45], v[100:103]// 00000000737C: D3F30064 1D925964
	ds_read_b128 a[0:3], v2                                    // 000000007384: DBFE0000 00000002
	ds_read_b128 a[4:7], v2 offset:64                          // 00000000738C: DBFE0040 04000002
	v_mfma_f32_16x16x32_fp8_fp8 v[100:103], a[102:103], a[46:47], v[100:103]// 000000007394: D3F30064 1D925D66
	v_mfma_f32_16x16x32_fp8_fp8 v[120:123], a[104:105], a[40:41], v[120:123]// 00000000739C: D3F30078 1DE25168
	buffer_load_dwordx4 a[84:87], v58, s[24:27], 0 offen offset:1024// 0000000073A4: E05C1400 8086543A
	v_mfma_f32_16x16x32_fp8_fp8 v[120:123], a[106:107], a[42:43], v[120:123]// 0000000073AC: D3F30078 1DE2556A
	v_mfma_f32_16x16x32_fp8_fp8 v[120:123], a[108:109], a[44:45], v[120:123]// 0000000073B4: D3F30078 1DE2596C
	ds_read_b128 a[8:11], v2 offset:512                        // 0000000073BC: DBFE0200 08000002
	ds_read_b128 a[12:15], v2 offset:576                       // 0000000073C4: DBFE0240 0C000002
	v_mfma_f32_16x16x32_fp8_fp8 v[120:123], a[110:111], a[46:47], v[120:123]// 0000000073CC: D3F30078 1DE25D6E
	v_mfma_f32_16x16x32_fp8_fp8 v[104:107], a[96:97], a[48:49], v[104:107]// 0000000073D4: D3F30068 1DA26160
	buffer_load_dwordx4 a[88:91], v59, s[24:27], 0 offen       // 0000000073DC: E05C1000 8086583B
	v_mfma_f32_16x16x32_fp8_fp8 v[104:107], a[98:99], a[50:51], v[104:107]// 0000000073E4: D3F30068 1DA26562
	v_mfma_f32_16x16x32_fp8_fp8 v[104:107], a[100:101], a[52:53], v[104:107]// 0000000073EC: D3F30068 1DA26964
	ds_read_b128 a[16:19], v2 offset:1024                      // 0000000073F4: DBFE0400 10000002
	ds_read_b128 a[20:23], v2 offset:1088                      // 0000000073FC: DBFE0440 14000002
	v_mfma_f32_16x16x32_fp8_fp8 v[104:107], a[102:103], a[54:55], v[104:107]// 000000007404: D3F30068 1DA26D66
	v_mfma_f32_16x16x32_fp8_fp8 v[124:127], a[104:105], a[48:49], v[124:127]// 00000000740C: D3F3007C 1DF26168
	buffer_load_dwordx4 a[92:95], v59, s[24:27], 0 offen offset:1024// 000000007414: E05C1400 80865C3B
	v_mfma_f32_16x16x32_fp8_fp8 v[124:127], a[106:107], a[50:51], v[124:127]// 00000000741C: D3F3007C 1DF2656A
	v_mfma_f32_16x16x32_fp8_fp8 v[124:127], a[108:109], a[52:53], v[124:127]// 000000007424: D3F3007C 1DF2696C
	ds_read_b128 a[24:27], v2 offset:1536                      // 00000000742C: DBFE0600 18000002
	ds_read_b128 a[28:31], v2 offset:1600                      // 000000007434: DBFE0640 1C000002
	v_mfma_f32_16x16x32_fp8_fp8 v[124:127], a[110:111], a[54:55], v[124:127]// 00000000743C: D3F3007C 1DF26D6E
	v_mfma_f32_16x16x32_fp8_fp8 v[108:111], a[96:97], a[56:57], v[108:111]// 000000007444: D3F3006C 1DB27160
	v_mfma_f32_16x16x32_fp8_fp8 v[108:111], a[98:99], a[58:59], v[108:111]// 00000000744C: D3F3006C 1DB27562
	v_mfma_f32_16x16x32_fp8_fp8 v[108:111], a[100:101], a[60:61], v[108:111]// 000000007454: D3F3006C 1DB27964
	ds_read_b128 a[32:35], v2 offset:2048                      // 00000000745C: DBFE0800 20000002
	ds_read_b128 a[36:39], v2 offset:2112                      // 000000007464: DBFE0840 24000002
	v_mfma_f32_16x16x32_fp8_fp8 v[108:111], a[102:103], a[62:63], v[108:111]// 00000000746C: D3F3006C 1DB27D66
	v_mfma_f32_16x16x32_fp8_fp8 v[128:131], a[104:105], a[56:57], v[128:131]// 000000007474: D3F30080 1E027168
	v_mfma_f32_16x16x32_fp8_fp8 v[128:131], a[106:107], a[58:59], v[128:131]// 00000000747C: D3F30080 1E02756A
	v_mfma_f32_16x16x32_fp8_fp8 v[128:131], a[108:109], a[60:61], v[128:131]// 000000007484: D3F30080 1E02796C
	v_mfma_f32_16x16x32_fp8_fp8 v[128:131], a[110:111], a[62:63], v[128:131]// 00000000748C: D3F30080 1E027D6E
	v_mfma_f32_16x16x32_fp8_fp8 v[112:115], a[96:97], a[64:65], v[112:115]// 000000007494: D3F30070 1DC28160
	v_mfma_f32_16x16x32_fp8_fp8 v[112:115], a[98:99], a[66:67], v[112:115]// 00000000749C: D3F30070 1DC28562
	v_mfma_f32_16x16x32_fp8_fp8 v[112:115], a[100:101], a[68:69], v[112:115]// 0000000074A4: D3F30070 1DC28964
	v_mfma_f32_16x16x32_fp8_fp8 v[112:115], a[102:103], a[70:71], v[112:115]// 0000000074AC: D3F30070 1DC28D66
	v_mfma_f32_16x16x32_fp8_fp8 v[132:135], a[104:105], a[64:65], v[132:135]// 0000000074B4: D3F30084 1E128168
	v_mfma_f32_16x16x32_fp8_fp8 v[132:135], a[106:107], a[66:67], v[132:135]// 0000000074BC: D3F30084 1E12856A
	v_mfma_f32_16x16x32_fp8_fp8 v[132:135], a[108:109], a[68:69], v[132:135]// 0000000074C4: D3F30084 1E12896C
	v_mfma_f32_16x16x32_fp8_fp8 v[132:135], a[110:111], a[70:71], v[132:135]// 0000000074CC: D3F30084 1E128D6E
	v_mfma_f32_16x16x32_fp8_fp8 v[116:119], a[96:97], a[72:73], v[116:119]// 0000000074D4: D3F30074 1DD29160
	v_mfma_f32_16x16x32_fp8_fp8 v[116:119], a[98:99], a[74:75], v[116:119]// 0000000074DC: D3F30074 1DD29562
	v_mfma_f32_16x16x32_fp8_fp8 v[116:119], a[100:101], a[76:77], v[116:119]// 0000000074E4: D3F30074 1DD29964
	s_add_u32 s60, 0x180, s80                                  // 0000000074EC: 803C50FF 00000180
	s_cmp_lt_u32 s60, s81                                      // 0000000074F4: BF0A513C
	s_cselect_b32 s57, s57, 0                                  // 0000000074F8: 85398039
	v_mfma_f32_16x16x32_fp8_fp8 v[116:119], a[102:103], a[78:79], v[116:119]// 0000000074FC: D3F30074 1DD29D66
	s_add_u32 s60, 0x100, s80                                  // 000000007504: 803C50FF 00000100
	s_cmp_lt_u32 s60, s81                                      // 00000000750C: BF0A513C
	s_cselect_b32 s58, s58, 0                                  // 000000007510: 853A803A
	v_mfma_f32_16x16x32_fp8_fp8 v[136:139], a[104:105], a[72:73], v[136:139]// 000000007514: D3F30088 1E229168
	s_add_u32 s24, s58, s24                                    // 00000000751C: 8018183A
	s_addc_u32 s25, 0, s25                                     // 000000007520: 82191980
	v_mfma_f32_16x16x32_fp8_fp8 v[136:139], a[106:107], a[74:75], v[136:139]// 000000007524: D3F30088 1E22956A
	s_add_u32 s20, s57, s20                                    // 00000000752C: 80141439
	s_addc_u32 s21, 0, s21                                     // 000000007530: 82151580
	v_mfma_f32_16x16x32_fp8_fp8 v[136:139], a[108:109], a[76:77], v[136:139]// 000000007534: D3F30088 1E22996C
	s_add_u32 s84, s83, s84                                    // 00000000753C: 80545453
	s_addc_u32 s85, 0, s85                                     // 000000007540: 82555580
	v_mfma_f32_16x16x32_fp8_fp8 v[136:139], a[110:111], a[78:79], v[136:139]// 000000007544: D3F30088 1E229D6E
	s_addk_i32 s80, 0x80                                       // 00000000754C: B7500080
	s_cmp_lt_i32 s80, s81                                      // 000000007550: BF045150
	s_cbranch_scc0 label_12DA                                  // 000000007554: BF840001
	s_branch label_10D1                                        // 000000007558: BF82FDF7

000000000000755c <label_12DA>:
	v_mul_f32_dpp v60, v24, v60 row_newbcast:0 row_mask:0xf bank_mask:0xf// 00000000755C: 0A7878FA FF015018
	v_mul_f32_dpp v61, v24, v61 row_newbcast:1 row_mask:0xf bank_mask:0xf// 000000007564: 0A7A7AFA FF015118
	v_mul_f32_dpp v62, v24, v62 row_newbcast:2 row_mask:0xf bank_mask:0xf// 00000000756C: 0A7C7CFA FF015218
	v_mul_f32_dpp v63, v24, v63 row_newbcast:3 row_mask:0xf bank_mask:0xf// 000000007574: 0A7E7EFA FF015318
	v_mul_f32_dpp v64, v24, v64 row_newbcast:0 row_mask:0xf bank_mask:0xf// 00000000757C: 0A8080FA FF015018
	v_mul_f32_dpp v65, v24, v65 row_newbcast:1 row_mask:0xf bank_mask:0xf// 000000007584: 0A8282FA FF015118
	v_mul_f32_dpp v66, v24, v66 row_newbcast:2 row_mask:0xf bank_mask:0xf// 00000000758C: 0A8484FA FF015218
	v_mul_f32_dpp v67, v24, v67 row_newbcast:3 row_mask:0xf bank_mask:0xf// 000000007594: 0A8686FA FF015318
	v_mul_f32_dpp v68, v24, v68 row_newbcast:0 row_mask:0xf bank_mask:0xf// 00000000759C: 0A8888FA FF015018
	v_mul_f32_dpp v69, v24, v69 row_newbcast:1 row_mask:0xf bank_mask:0xf// 0000000075A4: 0A8A8AFA FF015118
	v_mul_f32_dpp v70, v24, v70 row_newbcast:2 row_mask:0xf bank_mask:0xf// 0000000075AC: 0A8C8CFA FF015218
	v_mul_f32_dpp v71, v24, v71 row_newbcast:3 row_mask:0xf bank_mask:0xf// 0000000075B4: 0A8E8EFA FF015318
	v_mul_f32_dpp v72, v24, v72 row_newbcast:0 row_mask:0xf bank_mask:0xf// 0000000075BC: 0A9090FA FF015018
	v_mul_f32_dpp v73, v24, v73 row_newbcast:1 row_mask:0xf bank_mask:0xf// 0000000075C4: 0A9292FA FF015118
	v_mul_f32_dpp v74, v24, v74 row_newbcast:2 row_mask:0xf bank_mask:0xf// 0000000075CC: 0A9494FA FF015218
	v_mul_f32_dpp v75, v24, v75 row_newbcast:3 row_mask:0xf bank_mask:0xf// 0000000075D4: 0A9696FA FF015318
	v_mul_f32_dpp v76, v24, v76 row_newbcast:0 row_mask:0xf bank_mask:0xf// 0000000075DC: 0A9898FA FF015018
	v_mul_f32_dpp v77, v24, v77 row_newbcast:1 row_mask:0xf bank_mask:0xf// 0000000075E4: 0A9A9AFA FF015118
	v_mul_f32_dpp v78, v24, v78 row_newbcast:2 row_mask:0xf bank_mask:0xf// 0000000075EC: 0A9C9CFA FF015218
	v_mul_f32_dpp v79, v24, v79 row_newbcast:3 row_mask:0xf bank_mask:0xf// 0000000075F4: 0A9E9EFA FF015318
	v_mul_f32_dpp v80, v24, v80 row_newbcast:4 row_mask:0xf bank_mask:0xf// 0000000075FC: 0AA0A0FA FF015418
	v_mul_f32_dpp v81, v24, v81 row_newbcast:5 row_mask:0xf bank_mask:0xf// 000000007604: 0AA2A2FA FF015518
	v_mul_f32_dpp v82, v24, v82 row_newbcast:6 row_mask:0xf bank_mask:0xf// 00000000760C: 0AA4A4FA FF015618
	v_mul_f32_dpp v83, v24, v83 row_newbcast:7 row_mask:0xf bank_mask:0xf// 000000007614: 0AA6A6FA FF015718
	v_mul_f32_dpp v84, v24, v84 row_newbcast:4 row_mask:0xf bank_mask:0xf// 00000000761C: 0AA8A8FA FF015418
	v_mul_f32_dpp v85, v24, v85 row_newbcast:5 row_mask:0xf bank_mask:0xf// 000000007624: 0AAAAAFA FF015518
	v_mul_f32_dpp v86, v24, v86 row_newbcast:6 row_mask:0xf bank_mask:0xf// 00000000762C: 0AACACFA FF015618
	v_mul_f32_dpp v87, v24, v87 row_newbcast:7 row_mask:0xf bank_mask:0xf// 000000007634: 0AAEAEFA FF015718
	v_mul_f32_dpp v88, v24, v88 row_newbcast:4 row_mask:0xf bank_mask:0xf// 00000000763C: 0AB0B0FA FF015418
	v_mul_f32_dpp v89, v24, v89 row_newbcast:5 row_mask:0xf bank_mask:0xf// 000000007644: 0AB2B2FA FF015518
	v_mul_f32_dpp v90, v24, v90 row_newbcast:6 row_mask:0xf bank_mask:0xf// 00000000764C: 0AB4B4FA FF015618
	v_mul_f32_dpp v91, v24, v91 row_newbcast:7 row_mask:0xf bank_mask:0xf// 000000007654: 0AB6B6FA FF015718
	v_mul_f32_dpp v92, v24, v92 row_newbcast:4 row_mask:0xf bank_mask:0xf// 00000000765C: 0AB8B8FA FF015418
	v_mul_f32_dpp v93, v24, v93 row_newbcast:5 row_mask:0xf bank_mask:0xf// 000000007664: 0ABABAFA FF015518
	v_mul_f32_dpp v94, v24, v94 row_newbcast:6 row_mask:0xf bank_mask:0xf// 00000000766C: 0ABCBCFA FF015618
	v_mul_f32_dpp v95, v24, v95 row_newbcast:7 row_mask:0xf bank_mask:0xf// 000000007674: 0ABEBEFA FF015718
	v_mul_f32_dpp v96, v24, v96 row_newbcast:4 row_mask:0xf bank_mask:0xf// 00000000767C: 0AC0C0FA FF015418
	v_mul_f32_dpp v97, v24, v97 row_newbcast:5 row_mask:0xf bank_mask:0xf// 000000007684: 0AC2C2FA FF015518
	v_mul_f32_dpp v98, v24, v98 row_newbcast:6 row_mask:0xf bank_mask:0xf// 00000000768C: 0AC4C4FA FF015618
	v_mul_f32_dpp v99, v24, v99 row_newbcast:7 row_mask:0xf bank_mask:0xf// 000000007694: 0AC6C6FA FF015718
	v_mul_f32_dpp v100, v26, v100 row_newbcast:0 row_mask:0xf bank_mask:0xf// 00000000769C: 0AC8C8FA FF01501A
	v_mul_f32_dpp v101, v26, v101 row_newbcast:1 row_mask:0xf bank_mask:0xf// 0000000076A4: 0ACACAFA FF01511A
	v_mul_f32_dpp v102, v26, v102 row_newbcast:2 row_mask:0xf bank_mask:0xf// 0000000076AC: 0ACCCCFA FF01521A
	v_mul_f32_dpp v103, v26, v103 row_newbcast:3 row_mask:0xf bank_mask:0xf// 0000000076B4: 0ACECEFA FF01531A
	v_mul_f32_dpp v104, v26, v104 row_newbcast:0 row_mask:0xf bank_mask:0xf// 0000000076BC: 0AD0D0FA FF01501A
	v_mul_f32_dpp v105, v26, v105 row_newbcast:1 row_mask:0xf bank_mask:0xf// 0000000076C4: 0AD2D2FA FF01511A
	v_mul_f32_dpp v106, v26, v106 row_newbcast:2 row_mask:0xf bank_mask:0xf// 0000000076CC: 0AD4D4FA FF01521A
	v_mul_f32_dpp v107, v26, v107 row_newbcast:3 row_mask:0xf bank_mask:0xf// 0000000076D4: 0AD6D6FA FF01531A
	v_mul_f32_dpp v108, v26, v108 row_newbcast:0 row_mask:0xf bank_mask:0xf// 0000000076DC: 0AD8D8FA FF01501A
	v_mul_f32_dpp v109, v26, v109 row_newbcast:1 row_mask:0xf bank_mask:0xf// 0000000076E4: 0ADADAFA FF01511A
	v_mul_f32_dpp v110, v26, v110 row_newbcast:2 row_mask:0xf bank_mask:0xf// 0000000076EC: 0ADCDCFA FF01521A
	v_mul_f32_dpp v111, v26, v111 row_newbcast:3 row_mask:0xf bank_mask:0xf// 0000000076F4: 0ADEDEFA FF01531A
	v_mul_f32_dpp v112, v26, v112 row_newbcast:0 row_mask:0xf bank_mask:0xf// 0000000076FC: 0AE0E0FA FF01501A
	v_mul_f32_dpp v113, v26, v113 row_newbcast:1 row_mask:0xf bank_mask:0xf// 000000007704: 0AE2E2FA FF01511A
	v_mul_f32_dpp v114, v26, v114 row_newbcast:2 row_mask:0xf bank_mask:0xf// 00000000770C: 0AE4E4FA FF01521A
	v_mul_f32_dpp v115, v26, v115 row_newbcast:3 row_mask:0xf bank_mask:0xf// 000000007714: 0AE6E6FA FF01531A
	v_mul_f32_dpp v116, v26, v116 row_newbcast:0 row_mask:0xf bank_mask:0xf// 00000000771C: 0AE8E8FA FF01501A
	v_mul_f32_dpp v117, v26, v117 row_newbcast:1 row_mask:0xf bank_mask:0xf// 000000007724: 0AEAEAFA FF01511A
	v_mul_f32_dpp v118, v26, v118 row_newbcast:2 row_mask:0xf bank_mask:0xf// 00000000772C: 0AECECFA FF01521A
	v_mul_f32_dpp v119, v26, v119 row_newbcast:3 row_mask:0xf bank_mask:0xf// 000000007734: 0AEEEEFA FF01531A
	v_mul_f32_dpp v120, v26, v120 row_newbcast:4 row_mask:0xf bank_mask:0xf// 00000000773C: 0AF0F0FA FF01541A
	v_mul_f32_dpp v121, v26, v121 row_newbcast:5 row_mask:0xf bank_mask:0xf// 000000007744: 0AF2F2FA FF01551A
	v_mul_f32_dpp v122, v26, v122 row_newbcast:6 row_mask:0xf bank_mask:0xf// 00000000774C: 0AF4F4FA FF01561A
	v_mul_f32_dpp v123, v26, v123 row_newbcast:7 row_mask:0xf bank_mask:0xf// 000000007754: 0AF6F6FA FF01571A
	v_mul_f32_dpp v124, v26, v124 row_newbcast:4 row_mask:0xf bank_mask:0xf// 00000000775C: 0AF8F8FA FF01541A
	v_mul_f32_dpp v125, v26, v125 row_newbcast:5 row_mask:0xf bank_mask:0xf// 000000007764: 0AFAFAFA FF01551A
	v_mul_f32_dpp v126, v26, v126 row_newbcast:6 row_mask:0xf bank_mask:0xf// 00000000776C: 0AFCFCFA FF01561A
	v_mul_f32_dpp v127, v26, v127 row_newbcast:7 row_mask:0xf bank_mask:0xf// 000000007774: 0AFEFEFA FF01571A
	v_mul_f32_dpp v128, v26, v128 row_newbcast:4 row_mask:0xf bank_mask:0xf// 00000000777C: 0B0100FA FF01541A
	v_mul_f32_dpp v129, v26, v129 row_newbcast:5 row_mask:0xf bank_mask:0xf// 000000007784: 0B0302FA FF01551A
	v_mul_f32_dpp v130, v26, v130 row_newbcast:6 row_mask:0xf bank_mask:0xf// 00000000778C: 0B0504FA FF01561A
	v_mul_f32_dpp v131, v26, v131 row_newbcast:7 row_mask:0xf bank_mask:0xf// 000000007794: 0B0706FA FF01571A
	v_mul_f32_dpp v132, v26, v132 row_newbcast:4 row_mask:0xf bank_mask:0xf// 00000000779C: 0B0908FA FF01541A
	v_mul_f32_dpp v133, v26, v133 row_newbcast:5 row_mask:0xf bank_mask:0xf// 0000000077A4: 0B0B0AFA FF01551A
	v_mul_f32_dpp v134, v26, v134 row_newbcast:6 row_mask:0xf bank_mask:0xf// 0000000077AC: 0B0D0CFA FF01561A
	v_mul_f32_dpp v135, v26, v135 row_newbcast:7 row_mask:0xf bank_mask:0xf// 0000000077B4: 0B0F0EFA FF01571A
	v_mul_f32_dpp v136, v26, v136 row_newbcast:4 row_mask:0xf bank_mask:0xf// 0000000077BC: 0B1110FA FF01541A
	v_mul_f32_dpp v137, v26, v137 row_newbcast:5 row_mask:0xf bank_mask:0xf// 0000000077C4: 0B1312FA FF01551A
	v_mul_f32_dpp v138, v26, v138 row_newbcast:6 row_mask:0xf bank_mask:0xf// 0000000077CC: 0B1514FA FF01561A
	v_mul_f32_dpp v139, v26, v139 row_newbcast:7 row_mask:0xf bank_mask:0xf// 0000000077D4: 0B1716FA FF01571A
	v_mul_f32_e32 v33, v33, v140                               // 0000000077DC: 0A431921
	v_mov_b32_e32 v4, v33                                      // 0000000077E0: 7E080321
	v_mov_b32_e32 v5, v4                                       // 0000000077E4: 7E0A0304
	v_pk_mul_f32 v[60:61], v[4:5], v[60:61]                    // 0000000077E8: D3B1403C 18027904
	v_pk_mul_f32 v[100:101], v[4:5], v[100:101]                // 0000000077F0: D3B14064 1802C904
	v_pk_mul_f32 v[62:63], v[4:5], v[62:63]                    // 0000000077F8: D3B1403E 18027D04
	v_pk_mul_f32 v[102:103], v[4:5], v[102:103]                // 000000007800: D3B14066 1802CD04
	v_pk_mul_f32 v[80:81], v[4:5], v[80:81]                    // 000000007808: D3B14050 1802A104
	v_pk_mul_f32 v[120:121], v[4:5], v[120:121]                // 000000007810: D3B14078 1802F104
	v_pk_mul_f32 v[82:83], v[4:5], v[82:83]                    // 000000007818: D3B14052 1802A504
	v_pk_mul_f32 v[122:123], v[4:5], v[122:123]                // 000000007820: D3B1407A 1802F504
	v_mul_f32_e32 v34, v34, v141                               // 000000007828: 0A451B22
	v_mov_b32_e32 v4, v34                                      // 00000000782C: 7E080322
	v_mov_b32_e32 v5, v4                                       // 000000007830: 7E0A0304
	v_pk_mul_f32 v[64:65], v[4:5], v[64:65]                    // 000000007834: D3B14040 18028104
	v_pk_mul_f32 v[104:105], v[4:5], v[104:105]                // 00000000783C: D3B14068 1802D104
	v_pk_mul_f32 v[66:67], v[4:5], v[66:67]                    // 000000007844: D3B14042 18028504
	v_pk_mul_f32 v[106:107], v[4:5], v[106:107]                // 00000000784C: D3B1406A 1802D504
	v_pk_mul_f32 v[84:85], v[4:5], v[84:85]                    // 000000007854: D3B14054 1802A904
	v_pk_mul_f32 v[124:125], v[4:5], v[124:125]                // 00000000785C: D3B1407C 1802F904
	v_pk_mul_f32 v[86:87], v[4:5], v[86:87]                    // 000000007864: D3B14056 1802AD04
	v_pk_mul_f32 v[126:127], v[4:5], v[126:127]                // 00000000786C: D3B1407E 1802FD04
	v_mul_f32_e32 v35, v35, v142                               // 000000007874: 0A471D23
	v_mov_b32_e32 v4, v35                                      // 000000007878: 7E080323
	v_mov_b32_e32 v5, v4                                       // 00000000787C: 7E0A0304
	v_pk_mul_f32 v[68:69], v[4:5], v[68:69]                    // 000000007880: D3B14044 18028904
	v_pk_mul_f32 v[108:109], v[4:5], v[108:109]                // 000000007888: D3B1406C 1802D904
	v_pk_mul_f32 v[70:71], v[4:5], v[70:71]                    // 000000007890: D3B14046 18028D04
	v_pk_mul_f32 v[110:111], v[4:5], v[110:111]                // 000000007898: D3B1406E 1802DD04
	v_pk_mul_f32 v[88:89], v[4:5], v[88:89]                    // 0000000078A0: D3B14058 1802B104
	v_pk_mul_f32 v[128:129], v[4:5], v[128:129]                // 0000000078A8: D3B14080 18030104
	v_pk_mul_f32 v[90:91], v[4:5], v[90:91]                    // 0000000078B0: D3B1405A 1802B504
	v_pk_mul_f32 v[130:131], v[4:5], v[130:131]                // 0000000078B8: D3B14082 18030504
	v_mul_f32_e32 v36, v36, v143                               // 0000000078C0: 0A491F24
	v_mov_b32_e32 v4, v36                                      // 0000000078C4: 7E080324
	v_mov_b32_e32 v5, v4                                       // 0000000078C8: 7E0A0304
	v_pk_mul_f32 v[72:73], v[4:5], v[72:73]                    // 0000000078CC: D3B14048 18029104
	v_pk_mul_f32 v[112:113], v[4:5], v[112:113]                // 0000000078D4: D3B14070 1802E104
	v_pk_mul_f32 v[74:75], v[4:5], v[74:75]                    // 0000000078DC: D3B1404A 18029504
	v_pk_mul_f32 v[114:115], v[4:5], v[114:115]                // 0000000078E4: D3B14072 1802E504
	v_pk_mul_f32 v[92:93], v[4:5], v[92:93]                    // 0000000078EC: D3B1405C 1802B904
	v_pk_mul_f32 v[132:133], v[4:5], v[132:133]                // 0000000078F4: D3B14084 18030904
	v_pk_mul_f32 v[94:95], v[4:5], v[94:95]                    // 0000000078FC: D3B1405E 1802BD04
	v_pk_mul_f32 v[134:135], v[4:5], v[134:135]                // 000000007904: D3B14086 18030D04
	v_mul_f32_e32 v37, v37, v144                               // 00000000790C: 0A4B2125
	v_mov_b32_e32 v4, v37                                      // 000000007910: 7E080325
	v_mov_b32_e32 v5, v4                                       // 000000007914: 7E0A0304
	v_pk_mul_f32 v[76:77], v[4:5], v[76:77]                    // 000000007918: D3B1404C 18029904
	v_pk_mul_f32 v[116:117], v[4:5], v[116:117]                // 000000007920: D3B14074 1802E904
	v_pk_mul_f32 v[78:79], v[4:5], v[78:79]                    // 000000007928: D3B1404E 18029D04
	v_pk_mul_f32 v[118:119], v[4:5], v[118:119]                // 000000007930: D3B14076 1802ED04
	v_pk_mul_f32 v[96:97], v[4:5], v[96:97]                    // 000000007938: D3B14060 1802C104
	v_pk_mul_f32 v[136:137], v[4:5], v[136:137]                // 000000007940: D3B14088 18031104
	v_pk_mul_f32 v[98:99], v[4:5], v[98:99]                    // 000000007948: D3B14062 1802C504
	v_pk_mul_f32 v[138:139], v[4:5], v[138:139]                // 000000007950: D3B1408A 18031504
	s_cmp_eq_u32 s88, 0                                        // 000000007958: BF068058
	s_cbranch_scc0 label_19C4                                  // 00000000795C: BF8405E9
	s_cmp_eq_u32 s89, 0                                        // 000000007960: BF068059
	s_cbranch_scc1 label_1572                                  // 000000007964: BF850195
	v_mov_b32_e32 v8, v1                                       // 000000007968: 7E100301
	v_mov_b32_e32 v9, v1                                       // 00000000796C: 7E120301
	s_mov_b32 s60, s6                                          // 000000007970: BEBC0006
	s_mov_b32 s61, s6                                          // 000000007974: BEBD0006
	v_pk_mul_f32 v[4:5], v[60:61], v[60:61]                    // 000000007978: D3B14004 1802793C
	v_pk_mul_f32 v[6:7], v[62:63], v[62:63]                    // 000000007980: D3B14006 18027D3E
	v_pk_fma_f32 v[4:5], v[4:5], s[78:79], v[8:9]              // 000000007988: D3B04004 1C209D04
	v_pk_fma_f32 v[6:7], v[6:7], s[78:79], v[8:9]              // 000000007990: D3B04006 1C209D06
	v_pk_mul_f32 v[4:5], v[4:5], v[60:61]                      // 000000007998: D3B14004 18027904
	v_pk_mul_f32 v[6:7], v[6:7], v[62:63]                      // 0000000079A0: D3B14006 18027D06
	v_pk_mul_f32 v[4:5], v[4:5], s[60:61]                      // 0000000079A8: D3B14004 18007904
	v_pk_mul_f32 v[6:7], v[6:7], s[60:61]                      // 0000000079B0: D3B14006 18007906
	v_exp_f32_e32 v4, v4                                       // 0000000079B8: 7E084104
	v_exp_f32_e32 v5, v5                                       // 0000000079BC: 7E0A4105
	v_exp_f32_e32 v6, v6                                       // 0000000079C0: 7E0C4106
	v_exp_f32_e32 v7, v7                                       // 0000000079C4: 7E0E4107
	v_add_f32_e64 v4, v4, 1.0                                  // 0000000079C8: D1010004 0001E504
	v_add_f32_e64 v5, v5, 1.0                                  // 0000000079D0: D1010005 0001E505
	v_add_f32_e64 v6, v6, 1.0                                  // 0000000079D8: D1010006 0001E506
	v_add_f32_e64 v7, v7, 1.0                                  // 0000000079E0: D1010007 0001E507
	v_rcp_f32_e32 v4, v4                                       // 0000000079E8: 7E084504
	v_rcp_f32_e32 v5, v5                                       // 0000000079EC: 7E0A4505
	v_rcp_f32_e32 v6, v6                                       // 0000000079F0: 7E0C4506
	v_rcp_f32_e32 v7, v7                                       // 0000000079F4: 7E0E4507
	v_mul_f32_e32 v60, v60, v4                                 // 0000000079F8: 0A78093C
	v_mul_f32_e32 v61, v61, v5                                 // 0000000079FC: 0A7A0B3D
	v_mul_f32_e32 v62, v62, v6                                 // 000000007A00: 0A7C0D3E
	v_mul_f32_e32 v63, v63, v7                                 // 000000007A04: 0A7E0F3F
	v_mul_f32_e32 v60, v60, v100                               // 000000007A08: 0A78C93C
	v_mul_f32_e32 v61, v61, v101                               // 000000007A0C: 0A7ACB3D
	v_mul_f32_e32 v62, v62, v102                               // 000000007A10: 0A7CCD3E
	v_mul_f32_e32 v63, v63, v103                               // 000000007A14: 0A7ECF3F
	v_pk_mul_f32 v[4:5], v[64:65], v[64:65]                    // 000000007A18: D3B14004 18028140
	v_pk_mul_f32 v[6:7], v[66:67], v[66:67]                    // 000000007A20: D3B14006 18028542
	v_pk_fma_f32 v[4:5], v[4:5], s[78:79], v[8:9]              // 000000007A28: D3B04004 1C209D04
	v_pk_fma_f32 v[6:7], v[6:7], s[78:79], v[8:9]              // 000000007A30: D3B04006 1C209D06
	v_pk_mul_f32 v[4:5], v[4:5], v[64:65]                      // 000000007A38: D3B14004 18028104
	v_pk_mul_f32 v[6:7], v[6:7], v[66:67]                      // 000000007A40: D3B14006 18028506
	v_pk_mul_f32 v[4:5], v[4:5], s[60:61]                      // 000000007A48: D3B14004 18007904
	v_pk_mul_f32 v[6:7], v[6:7], s[60:61]                      // 000000007A50: D3B14006 18007906
	v_exp_f32_e32 v4, v4                                       // 000000007A58: 7E084104
	v_exp_f32_e32 v5, v5                                       // 000000007A5C: 7E0A4105
	v_exp_f32_e32 v6, v6                                       // 000000007A60: 7E0C4106
	v_exp_f32_e32 v7, v7                                       // 000000007A64: 7E0E4107
	v_add_f32_e64 v4, v4, 1.0                                  // 000000007A68: D1010004 0001E504
	v_add_f32_e64 v5, v5, 1.0                                  // 000000007A70: D1010005 0001E505
	v_add_f32_e64 v6, v6, 1.0                                  // 000000007A78: D1010006 0001E506
	v_add_f32_e64 v7, v7, 1.0                                  // 000000007A80: D1010007 0001E507
	v_rcp_f32_e32 v4, v4                                       // 000000007A88: 7E084504
	v_rcp_f32_e32 v5, v5                                       // 000000007A8C: 7E0A4505
	v_rcp_f32_e32 v6, v6                                       // 000000007A90: 7E0C4506
	v_rcp_f32_e32 v7, v7                                       // 000000007A94: 7E0E4507
	v_mul_f32_e32 v64, v64, v4                                 // 000000007A98: 0A800940
	v_mul_f32_e32 v65, v65, v5                                 // 000000007A9C: 0A820B41
	v_mul_f32_e32 v66, v66, v6                                 // 000000007AA0: 0A840D42
	v_mul_f32_e32 v67, v67, v7                                 // 000000007AA4: 0A860F43
	v_mul_f32_e32 v64, v64, v104                               // 000000007AA8: 0A80D140
	v_mul_f32_e32 v65, v65, v105                               // 000000007AAC: 0A82D341
	v_mul_f32_e32 v66, v66, v106                               // 000000007AB0: 0A84D542
	v_mul_f32_e32 v67, v67, v107                               // 000000007AB4: 0A86D743
	v_pk_mul_f32 v[4:5], v[68:69], v[68:69]                    // 000000007AB8: D3B14004 18028944
	v_pk_mul_f32 v[6:7], v[70:71], v[70:71]                    // 000000007AC0: D3B14006 18028D46
	v_pk_fma_f32 v[4:5], v[4:5], s[78:79], v[8:9]              // 000000007AC8: D3B04004 1C209D04
	v_pk_fma_f32 v[6:7], v[6:7], s[78:79], v[8:9]              // 000000007AD0: D3B04006 1C209D06
	v_pk_mul_f32 v[4:5], v[4:5], v[68:69]                      // 000000007AD8: D3B14004 18028904
	v_pk_mul_f32 v[6:7], v[6:7], v[70:71]                      // 000000007AE0: D3B14006 18028D06
	v_pk_mul_f32 v[4:5], v[4:5], s[60:61]                      // 000000007AE8: D3B14004 18007904
	v_pk_mul_f32 v[6:7], v[6:7], s[60:61]                      // 000000007AF0: D3B14006 18007906
	v_exp_f32_e32 v4, v4                                       // 000000007AF8: 7E084104
	v_exp_f32_e32 v5, v5                                       // 000000007AFC: 7E0A4105
	v_exp_f32_e32 v6, v6                                       // 000000007B00: 7E0C4106
	v_exp_f32_e32 v7, v7                                       // 000000007B04: 7E0E4107
	v_add_f32_e64 v4, v4, 1.0                                  // 000000007B08: D1010004 0001E504
	v_add_f32_e64 v5, v5, 1.0                                  // 000000007B10: D1010005 0001E505
	v_add_f32_e64 v6, v6, 1.0                                  // 000000007B18: D1010006 0001E506
	v_add_f32_e64 v7, v7, 1.0                                  // 000000007B20: D1010007 0001E507
	v_rcp_f32_e32 v4, v4                                       // 000000007B28: 7E084504
	v_rcp_f32_e32 v5, v5                                       // 000000007B2C: 7E0A4505
	v_rcp_f32_e32 v6, v6                                       // 000000007B30: 7E0C4506
	v_rcp_f32_e32 v7, v7                                       // 000000007B34: 7E0E4507
	v_mul_f32_e32 v68, v68, v4                                 // 000000007B38: 0A880944
	v_mul_f32_e32 v69, v69, v5                                 // 000000007B3C: 0A8A0B45
	v_mul_f32_e32 v70, v70, v6                                 // 000000007B40: 0A8C0D46
	v_mul_f32_e32 v71, v71, v7                                 // 000000007B44: 0A8E0F47
	v_mul_f32_e32 v68, v68, v108                               // 000000007B48: 0A88D944
	v_mul_f32_e32 v69, v69, v109                               // 000000007B4C: 0A8ADB45
	v_mul_f32_e32 v70, v70, v110                               // 000000007B50: 0A8CDD46
	v_mul_f32_e32 v71, v71, v111                               // 000000007B54: 0A8EDF47
	v_pk_mul_f32 v[4:5], v[72:73], v[72:73]                    // 000000007B58: D3B14004 18029148
	v_pk_mul_f32 v[6:7], v[74:75], v[74:75]                    // 000000007B60: D3B14006 1802954A
	v_pk_fma_f32 v[4:5], v[4:5], s[78:79], v[8:9]              // 000000007B68: D3B04004 1C209D04
	v_pk_fma_f32 v[6:7], v[6:7], s[78:79], v[8:9]              // 000000007B70: D3B04006 1C209D06
	v_pk_mul_f32 v[4:5], v[4:5], v[72:73]                      // 000000007B78: D3B14004 18029104
	v_pk_mul_f32 v[6:7], v[6:7], v[74:75]                      // 000000007B80: D3B14006 18029506
	v_pk_mul_f32 v[4:5], v[4:5], s[60:61]                      // 000000007B88: D3B14004 18007904
	v_pk_mul_f32 v[6:7], v[6:7], s[60:61]                      // 000000007B90: D3B14006 18007906
	v_exp_f32_e32 v4, v4                                       // 000000007B98: 7E084104
	v_exp_f32_e32 v5, v5                                       // 000000007B9C: 7E0A4105
	v_exp_f32_e32 v6, v6                                       // 000000007BA0: 7E0C4106
	v_exp_f32_e32 v7, v7                                       // 000000007BA4: 7E0E4107
	v_add_f32_e64 v4, v4, 1.0                                  // 000000007BA8: D1010004 0001E504
	v_add_f32_e64 v5, v5, 1.0                                  // 000000007BB0: D1010005 0001E505
	v_add_f32_e64 v6, v6, 1.0                                  // 000000007BB8: D1010006 0001E506
	v_add_f32_e64 v7, v7, 1.0                                  // 000000007BC0: D1010007 0001E507
	v_rcp_f32_e32 v4, v4                                       // 000000007BC8: 7E084504
	v_rcp_f32_e32 v5, v5                                       // 000000007BCC: 7E0A4505
	v_rcp_f32_e32 v6, v6                                       // 000000007BD0: 7E0C4506
	v_rcp_f32_e32 v7, v7                                       // 000000007BD4: 7E0E4507
	v_mul_f32_e32 v72, v72, v4                                 // 000000007BD8: 0A900948
	v_mul_f32_e32 v73, v73, v5                                 // 000000007BDC: 0A920B49
	v_mul_f32_e32 v74, v74, v6                                 // 000000007BE0: 0A940D4A
	v_mul_f32_e32 v75, v75, v7                                 // 000000007BE4: 0A960F4B
	v_mul_f32_e32 v72, v72, v112                               // 000000007BE8: 0A90E148
	v_mul_f32_e32 v73, v73, v113                               // 000000007BEC: 0A92E349
	v_mul_f32_e32 v74, v74, v114                               // 000000007BF0: 0A94E54A
	v_mul_f32_e32 v75, v75, v115                               // 000000007BF4: 0A96E74B
	v_pk_mul_f32 v[4:5], v[76:77], v[76:77]                    // 000000007BF8: D3B14004 1802994C
	v_pk_mul_f32 v[6:7], v[78:79], v[78:79]                    // 000000007C00: D3B14006 18029D4E
	v_pk_fma_f32 v[4:5], v[4:5], s[78:79], v[8:9]              // 000000007C08: D3B04004 1C209D04
	v_pk_fma_f32 v[6:7], v[6:7], s[78:79], v[8:9]              // 000000007C10: D3B04006 1C209D06
	v_pk_mul_f32 v[4:5], v[4:5], v[76:77]                      // 000000007C18: D3B14004 18029904
	v_pk_mul_f32 v[6:7], v[6:7], v[78:79]                      // 000000007C20: D3B14006 18029D06
	v_pk_mul_f32 v[4:5], v[4:5], s[60:61]                      // 000000007C28: D3B14004 18007904
	v_pk_mul_f32 v[6:7], v[6:7], s[60:61]                      // 000000007C30: D3B14006 18007906
	v_exp_f32_e32 v4, v4                                       // 000000007C38: 7E084104
	v_exp_f32_e32 v5, v5                                       // 000000007C3C: 7E0A4105
	v_exp_f32_e32 v6, v6                                       // 000000007C40: 7E0C4106
	v_exp_f32_e32 v7, v7                                       // 000000007C44: 7E0E4107
	v_add_f32_e64 v4, v4, 1.0                                  // 000000007C48: D1010004 0001E504
	v_add_f32_e64 v5, v5, 1.0                                  // 000000007C50: D1010005 0001E505
	v_add_f32_e64 v6, v6, 1.0                                  // 000000007C58: D1010006 0001E506
	v_add_f32_e64 v7, v7, 1.0                                  // 000000007C60: D1010007 0001E507
	v_rcp_f32_e32 v4, v4                                       // 000000007C68: 7E084504
	v_rcp_f32_e32 v5, v5                                       // 000000007C6C: 7E0A4505
	v_rcp_f32_e32 v6, v6                                       // 000000007C70: 7E0C4506
	v_rcp_f32_e32 v7, v7                                       // 000000007C74: 7E0E4507
	v_mul_f32_e32 v76, v76, v4                                 // 000000007C78: 0A98094C
	v_mul_f32_e32 v77, v77, v5                                 // 000000007C7C: 0A9A0B4D
	v_mul_f32_e32 v78, v78, v6                                 // 000000007C80: 0A9C0D4E
	v_mul_f32_e32 v79, v79, v7                                 // 000000007C84: 0A9E0F4F
	v_mul_f32_e32 v76, v76, v116                               // 000000007C88: 0A98E94C
	v_mul_f32_e32 v77, v77, v117                               // 000000007C8C: 0A9AEB4D
	v_mul_f32_e32 v78, v78, v118                               // 000000007C90: 0A9CED4E
	v_mul_f32_e32 v79, v79, v119                               // 000000007C94: 0A9EEF4F
	v_pk_mul_f32 v[4:5], v[80:81], v[80:81]                    // 000000007C98: D3B14004 1802A150
	v_pk_mul_f32 v[6:7], v[82:83], v[82:83]                    // 000000007CA0: D3B14006 1802A552
	v_pk_fma_f32 v[4:5], v[4:5], s[78:79], v[8:9]              // 000000007CA8: D3B04004 1C209D04
	v_pk_fma_f32 v[6:7], v[6:7], s[78:79], v[8:9]              // 000000007CB0: D3B04006 1C209D06
	v_pk_mul_f32 v[4:5], v[4:5], v[80:81]                      // 000000007CB8: D3B14004 1802A104
	v_pk_mul_f32 v[6:7], v[6:7], v[82:83]                      // 000000007CC0: D3B14006 1802A506
	v_pk_mul_f32 v[4:5], v[4:5], s[60:61]                      // 000000007CC8: D3B14004 18007904
	v_pk_mul_f32 v[6:7], v[6:7], s[60:61]                      // 000000007CD0: D3B14006 18007906
	v_exp_f32_e32 v4, v4                                       // 000000007CD8: 7E084104
	v_exp_f32_e32 v5, v5                                       // 000000007CDC: 7E0A4105
	v_exp_f32_e32 v6, v6                                       // 000000007CE0: 7E0C4106
	v_exp_f32_e32 v7, v7                                       // 000000007CE4: 7E0E4107
	v_add_f32_e64 v4, v4, 1.0                                  // 000000007CE8: D1010004 0001E504
	v_add_f32_e64 v5, v5, 1.0                                  // 000000007CF0: D1010005 0001E505
	v_add_f32_e64 v6, v6, 1.0                                  // 000000007CF8: D1010006 0001E506
	v_add_f32_e64 v7, v7, 1.0                                  // 000000007D00: D1010007 0001E507
	v_rcp_f32_e32 v4, v4                                       // 000000007D08: 7E084504
	v_rcp_f32_e32 v5, v5                                       // 000000007D0C: 7E0A4505
	v_rcp_f32_e32 v6, v6                                       // 000000007D10: 7E0C4506
	v_rcp_f32_e32 v7, v7                                       // 000000007D14: 7E0E4507
	v_mul_f32_e32 v80, v80, v4                                 // 000000007D18: 0AA00950
	v_mul_f32_e32 v81, v81, v5                                 // 000000007D1C: 0AA20B51
	v_mul_f32_e32 v82, v82, v6                                 // 000000007D20: 0AA40D52
	v_mul_f32_e32 v83, v83, v7                                 // 000000007D24: 0AA60F53
	v_mul_f32_e32 v80, v80, v120                               // 000000007D28: 0AA0F150
	v_mul_f32_e32 v81, v81, v121                               // 000000007D2C: 0AA2F351
	v_mul_f32_e32 v82, v82, v122                               // 000000007D30: 0AA4F552
	v_mul_f32_e32 v83, v83, v123                               // 000000007D34: 0AA6F753
	v_pk_mul_f32 v[4:5], v[84:85], v[84:85]                    // 000000007D38: D3B14004 1802A954
	v_pk_mul_f32 v[6:7], v[86:87], v[86:87]                    // 000000007D40: D3B14006 1802AD56
	v_pk_fma_f32 v[4:5], v[4:5], s[78:79], v[8:9]              // 000000007D48: D3B04004 1C209D04
	v_pk_fma_f32 v[6:7], v[6:7], s[78:79], v[8:9]              // 000000007D50: D3B04006 1C209D06
	v_pk_mul_f32 v[4:5], v[4:5], v[84:85]                      // 000000007D58: D3B14004 1802A904
	v_pk_mul_f32 v[6:7], v[6:7], v[86:87]                      // 000000007D60: D3B14006 1802AD06
	v_pk_mul_f32 v[4:5], v[4:5], s[60:61]                      // 000000007D68: D3B14004 18007904
	v_pk_mul_f32 v[6:7], v[6:7], s[60:61]                      // 000000007D70: D3B14006 18007906
	v_exp_f32_e32 v4, v4                                       // 000000007D78: 7E084104
	v_exp_f32_e32 v5, v5                                       // 000000007D7C: 7E0A4105
	v_exp_f32_e32 v6, v6                                       // 000000007D80: 7E0C4106
	v_exp_f32_e32 v7, v7                                       // 000000007D84: 7E0E4107
	v_add_f32_e64 v4, v4, 1.0                                  // 000000007D88: D1010004 0001E504
	v_add_f32_e64 v5, v5, 1.0                                  // 000000007D90: D1010005 0001E505
	v_add_f32_e64 v6, v6, 1.0                                  // 000000007D98: D1010006 0001E506
	v_add_f32_e64 v7, v7, 1.0                                  // 000000007DA0: D1010007 0001E507
	v_rcp_f32_e32 v4, v4                                       // 000000007DA8: 7E084504
	v_rcp_f32_e32 v5, v5                                       // 000000007DAC: 7E0A4505
	v_rcp_f32_e32 v6, v6                                       // 000000007DB0: 7E0C4506
	v_rcp_f32_e32 v7, v7                                       // 000000007DB4: 7E0E4507
	v_mul_f32_e32 v84, v84, v4                                 // 000000007DB8: 0AA80954
	v_mul_f32_e32 v85, v85, v5                                 // 000000007DBC: 0AAA0B55
	v_mul_f32_e32 v86, v86, v6                                 // 000000007DC0: 0AAC0D56
	v_mul_f32_e32 v87, v87, v7                                 // 000000007DC4: 0AAE0F57
	v_mul_f32_e32 v84, v84, v124                               // 000000007DC8: 0AA8F954
	v_mul_f32_e32 v85, v85, v125                               // 000000007DCC: 0AAAFB55
	v_mul_f32_e32 v86, v86, v126                               // 000000007DD0: 0AACFD56
	v_mul_f32_e32 v87, v87, v127                               // 000000007DD4: 0AAEFF57
	v_pk_mul_f32 v[4:5], v[88:89], v[88:89]                    // 000000007DD8: D3B14004 1802B158
	v_pk_mul_f32 v[6:7], v[90:91], v[90:91]                    // 000000007DE0: D3B14006 1802B55A
	v_pk_fma_f32 v[4:5], v[4:5], s[78:79], v[8:9]              // 000000007DE8: D3B04004 1C209D04
	v_pk_fma_f32 v[6:7], v[6:7], s[78:79], v[8:9]              // 000000007DF0: D3B04006 1C209D06
	v_pk_mul_f32 v[4:5], v[4:5], v[88:89]                      // 000000007DF8: D3B14004 1802B104
	v_pk_mul_f32 v[6:7], v[6:7], v[90:91]                      // 000000007E00: D3B14006 1802B506
	v_pk_mul_f32 v[4:5], v[4:5], s[60:61]                      // 000000007E08: D3B14004 18007904
	v_pk_mul_f32 v[6:7], v[6:7], s[60:61]                      // 000000007E10: D3B14006 18007906
	v_exp_f32_e32 v4, v4                                       // 000000007E18: 7E084104
	v_exp_f32_e32 v5, v5                                       // 000000007E1C: 7E0A4105
	v_exp_f32_e32 v6, v6                                       // 000000007E20: 7E0C4106
	v_exp_f32_e32 v7, v7                                       // 000000007E24: 7E0E4107
	v_add_f32_e64 v4, v4, 1.0                                  // 000000007E28: D1010004 0001E504
	v_add_f32_e64 v5, v5, 1.0                                  // 000000007E30: D1010005 0001E505
	v_add_f32_e64 v6, v6, 1.0                                  // 000000007E38: D1010006 0001E506
	v_add_f32_e64 v7, v7, 1.0                                  // 000000007E40: D1010007 0001E507
	v_rcp_f32_e32 v4, v4                                       // 000000007E48: 7E084504
	v_rcp_f32_e32 v5, v5                                       // 000000007E4C: 7E0A4505
	v_rcp_f32_e32 v6, v6                                       // 000000007E50: 7E0C4506
	v_rcp_f32_e32 v7, v7                                       // 000000007E54: 7E0E4507
	v_mul_f32_e32 v88, v88, v4                                 // 000000007E58: 0AB00958
	v_mul_f32_e32 v89, v89, v5                                 // 000000007E5C: 0AB20B59
	v_mul_f32_e32 v90, v90, v6                                 // 000000007E60: 0AB40D5A
	v_mul_f32_e32 v91, v91, v7                                 // 000000007E64: 0AB60F5B
	v_mul_f32_e32 v88, v88, v128                               // 000000007E68: 0AB10158
	v_mul_f32_e32 v89, v89, v129                               // 000000007E6C: 0AB30359
	v_mul_f32_e32 v90, v90, v130                               // 000000007E70: 0AB5055A
	v_mul_f32_e32 v91, v91, v131                               // 000000007E74: 0AB7075B
	v_pk_mul_f32 v[4:5], v[92:93], v[92:93]                    // 000000007E78: D3B14004 1802B95C
	v_pk_mul_f32 v[6:7], v[94:95], v[94:95]                    // 000000007E80: D3B14006 1802BD5E
	v_pk_fma_f32 v[4:5], v[4:5], s[78:79], v[8:9]              // 000000007E88: D3B04004 1C209D04
	v_pk_fma_f32 v[6:7], v[6:7], s[78:79], v[8:9]              // 000000007E90: D3B04006 1C209D06
	v_pk_mul_f32 v[4:5], v[4:5], v[92:93]                      // 000000007E98: D3B14004 1802B904
	v_pk_mul_f32 v[6:7], v[6:7], v[94:95]                      // 000000007EA0: D3B14006 1802BD06
	v_pk_mul_f32 v[4:5], v[4:5], s[60:61]                      // 000000007EA8: D3B14004 18007904
	v_pk_mul_f32 v[6:7], v[6:7], s[60:61]                      // 000000007EB0: D3B14006 18007906
	v_exp_f32_e32 v4, v4                                       // 000000007EB8: 7E084104
	v_exp_f32_e32 v5, v5                                       // 000000007EBC: 7E0A4105
	v_exp_f32_e32 v6, v6                                       // 000000007EC0: 7E0C4106
	v_exp_f32_e32 v7, v7                                       // 000000007EC4: 7E0E4107
	v_add_f32_e64 v4, v4, 1.0                                  // 000000007EC8: D1010004 0001E504
	v_add_f32_e64 v5, v5, 1.0                                  // 000000007ED0: D1010005 0001E505
	v_add_f32_e64 v6, v6, 1.0                                  // 000000007ED8: D1010006 0001E506
	v_add_f32_e64 v7, v7, 1.0                                  // 000000007EE0: D1010007 0001E507
	v_rcp_f32_e32 v4, v4                                       // 000000007EE8: 7E084504
	v_rcp_f32_e32 v5, v5                                       // 000000007EEC: 7E0A4505
	v_rcp_f32_e32 v6, v6                                       // 000000007EF0: 7E0C4506
	v_rcp_f32_e32 v7, v7                                       // 000000007EF4: 7E0E4507
	v_mul_f32_e32 v92, v92, v4                                 // 000000007EF8: 0AB8095C
	v_mul_f32_e32 v93, v93, v5                                 // 000000007EFC: 0ABA0B5D
	v_mul_f32_e32 v94, v94, v6                                 // 000000007F00: 0ABC0D5E
	v_mul_f32_e32 v95, v95, v7                                 // 000000007F04: 0ABE0F5F
	v_mul_f32_e32 v92, v92, v132                               // 000000007F08: 0AB9095C
	v_mul_f32_e32 v93, v93, v133                               // 000000007F0C: 0ABB0B5D
	v_mul_f32_e32 v94, v94, v134                               // 000000007F10: 0ABD0D5E
	v_mul_f32_e32 v95, v95, v135                               // 000000007F14: 0ABF0F5F
	v_pk_mul_f32 v[4:5], v[96:97], v[96:97]                    // 000000007F18: D3B14004 1802C160
	v_pk_mul_f32 v[6:7], v[98:99], v[98:99]                    // 000000007F20: D3B14006 1802C562
	v_pk_fma_f32 v[4:5], v[4:5], s[78:79], v[8:9]              // 000000007F28: D3B04004 1C209D04
	v_pk_fma_f32 v[6:7], v[6:7], s[78:79], v[8:9]              // 000000007F30: D3B04006 1C209D06
	v_pk_mul_f32 v[4:5], v[4:5], v[96:97]                      // 000000007F38: D3B14004 1802C104
	v_pk_mul_f32 v[6:7], v[6:7], v[98:99]                      // 000000007F40: D3B14006 1802C506
	v_pk_mul_f32 v[4:5], v[4:5], s[60:61]                      // 000000007F48: D3B14004 18007904
	v_pk_mul_f32 v[6:7], v[6:7], s[60:61]                      // 000000007F50: D3B14006 18007906
	v_exp_f32_e32 v4, v4                                       // 000000007F58: 7E084104
	v_exp_f32_e32 v5, v5                                       // 000000007F5C: 7E0A4105
	v_exp_f32_e32 v6, v6                                       // 000000007F60: 7E0C4106
	v_exp_f32_e32 v7, v7                                       // 000000007F64: 7E0E4107
	v_add_f32_e64 v4, v4, 1.0                                  // 000000007F68: D1010004 0001E504
	v_add_f32_e64 v5, v5, 1.0                                  // 000000007F70: D1010005 0001E505
	v_add_f32_e64 v6, v6, 1.0                                  // 000000007F78: D1010006 0001E506
	v_add_f32_e64 v7, v7, 1.0                                  // 000000007F80: D1010007 0001E507
	v_rcp_f32_e32 v4, v4                                       // 000000007F88: 7E084504
	v_rcp_f32_e32 v5, v5                                       // 000000007F8C: 7E0A4505
	v_rcp_f32_e32 v6, v6                                       // 000000007F90: 7E0C4506
	v_rcp_f32_e32 v7, v7                                       // 000000007F94: 7E0E4507
	v_mul_f32_e32 v96, v96, v4                                 // 000000007F98: 0AC00960
	v_mul_f32_e32 v97, v97, v5                                 // 000000007F9C: 0AC20B61
	v_mul_f32_e32 v98, v98, v6                                 // 000000007FA0: 0AC40D62
	v_mul_f32_e32 v99, v99, v7                                 // 000000007FA4: 0AC60F63
	v_mul_f32_e32 v96, v96, v136                               // 000000007FA8: 0AC11160
	v_mul_f32_e32 v97, v97, v137                               // 000000007FAC: 0AC31361
	v_mul_f32_e32 v98, v98, v138                               // 000000007FB0: 0AC51562
	v_mul_f32_e32 v99, v99, v139                               // 000000007FB4: 0AC71763
	s_branch label_16B2                                        // 000000007FB8: BF820140

0000000000007fbc <label_1572>:
	v_mul_f32_e64 v4, -v60, s6                                 // 000000007FBC: D1050004 20000D3C
	v_mul_f32_e64 v5, -v61, s6                                 // 000000007FC4: D1050005 20000D3D
	v_mul_f32_e64 v6, -v62, s6                                 // 000000007FCC: D1050006 20000D3E
	v_mul_f32_e64 v7, -v63, s6                                 // 000000007FD4: D1050007 20000D3F
	v_exp_f32_e32 v4, v4                                       // 000000007FDC: 7E084104
	v_exp_f32_e32 v5, v5                                       // 000000007FE0: 7E0A4105
	v_exp_f32_e32 v6, v6                                       // 000000007FE4: 7E0C4106
	v_exp_f32_e32 v7, v7                                       // 000000007FE8: 7E0E4107
	v_add_f32_e64 v4, v4, 1.0                                  // 000000007FEC: D1010004 0001E504
	v_add_f32_e64 v5, v5, 1.0                                  // 000000007FF4: D1010005 0001E505
	v_add_f32_e64 v6, v6, 1.0                                  // 000000007FFC: D1010006 0001E506
	v_add_f32_e64 v7, v7, 1.0                                  // 000000008004: D1010007 0001E507
	v_rcp_f32_e32 v4, v4                                       // 00000000800C: 7E084504
	v_rcp_f32_e32 v5, v5                                       // 000000008010: 7E0A4505
	v_rcp_f32_e32 v6, v6                                       // 000000008014: 7E0C4506
	v_rcp_f32_e32 v7, v7                                       // 000000008018: 7E0E4507
	v_mul_f32_e32 v60, v60, v4                                 // 00000000801C: 0A78093C
	v_mul_f32_e32 v61, v61, v5                                 // 000000008020: 0A7A0B3D
	v_mul_f32_e32 v62, v62, v6                                 // 000000008024: 0A7C0D3E
	v_mul_f32_e32 v63, v63, v7                                 // 000000008028: 0A7E0F3F
	v_mul_f32_e32 v60, v60, v100                               // 00000000802C: 0A78C93C
	v_mul_f32_e32 v61, v61, v101                               // 000000008030: 0A7ACB3D
	v_mul_f32_e32 v62, v62, v102                               // 000000008034: 0A7CCD3E
	v_mul_f32_e32 v63, v63, v103                               // 000000008038: 0A7ECF3F
	v_mul_f32_e64 v4, -v64, s6                                 // 00000000803C: D1050004 20000D40
	v_mul_f32_e64 v5, -v65, s6                                 // 000000008044: D1050005 20000D41
	v_mul_f32_e64 v6, -v66, s6                                 // 00000000804C: D1050006 20000D42
	v_mul_f32_e64 v7, -v67, s6                                 // 000000008054: D1050007 20000D43
	v_exp_f32_e32 v4, v4                                       // 00000000805C: 7E084104
	v_exp_f32_e32 v5, v5                                       // 000000008060: 7E0A4105
	v_exp_f32_e32 v6, v6                                       // 000000008064: 7E0C4106
	v_exp_f32_e32 v7, v7                                       // 000000008068: 7E0E4107
	v_add_f32_e64 v4, v4, 1.0                                  // 00000000806C: D1010004 0001E504
	v_add_f32_e64 v5, v5, 1.0                                  // 000000008074: D1010005 0001E505
	v_add_f32_e64 v6, v6, 1.0                                  // 00000000807C: D1010006 0001E506
	v_add_f32_e64 v7, v7, 1.0                                  // 000000008084: D1010007 0001E507
	v_rcp_f32_e32 v4, v4                                       // 00000000808C: 7E084504
	v_rcp_f32_e32 v5, v5                                       // 000000008090: 7E0A4505
	v_rcp_f32_e32 v6, v6                                       // 000000008094: 7E0C4506
	v_rcp_f32_e32 v7, v7                                       // 000000008098: 7E0E4507
	v_mul_f32_e32 v64, v64, v4                                 // 00000000809C: 0A800940
	v_mul_f32_e32 v65, v65, v5                                 // 0000000080A0: 0A820B41
	v_mul_f32_e32 v66, v66, v6                                 // 0000000080A4: 0A840D42
	v_mul_f32_e32 v67, v67, v7                                 // 0000000080A8: 0A860F43
	v_mul_f32_e32 v64, v64, v104                               // 0000000080AC: 0A80D140
	v_mul_f32_e32 v65, v65, v105                               // 0000000080B0: 0A82D341
	v_mul_f32_e32 v66, v66, v106                               // 0000000080B4: 0A84D542
	v_mul_f32_e32 v67, v67, v107                               // 0000000080B8: 0A86D743
	v_mul_f32_e64 v4, -v68, s6                                 // 0000000080BC: D1050004 20000D44
	v_mul_f32_e64 v5, -v69, s6                                 // 0000000080C4: D1050005 20000D45
	v_mul_f32_e64 v6, -v70, s6                                 // 0000000080CC: D1050006 20000D46
	v_mul_f32_e64 v7, -v71, s6                                 // 0000000080D4: D1050007 20000D47
	v_exp_f32_e32 v4, v4                                       // 0000000080DC: 7E084104
	v_exp_f32_e32 v5, v5                                       // 0000000080E0: 7E0A4105
	v_exp_f32_e32 v6, v6                                       // 0000000080E4: 7E0C4106
	v_exp_f32_e32 v7, v7                                       // 0000000080E8: 7E0E4107
	v_add_f32_e64 v4, v4, 1.0                                  // 0000000080EC: D1010004 0001E504
	v_add_f32_e64 v5, v5, 1.0                                  // 0000000080F4: D1010005 0001E505
	v_add_f32_e64 v6, v6, 1.0                                  // 0000000080FC: D1010006 0001E506
	v_add_f32_e64 v7, v7, 1.0                                  // 000000008104: D1010007 0001E507
	v_rcp_f32_e32 v4, v4                                       // 00000000810C: 7E084504
	v_rcp_f32_e32 v5, v5                                       // 000000008110: 7E0A4505
	v_rcp_f32_e32 v6, v6                                       // 000000008114: 7E0C4506
	v_rcp_f32_e32 v7, v7                                       // 000000008118: 7E0E4507
	v_mul_f32_e32 v68, v68, v4                                 // 00000000811C: 0A880944
	v_mul_f32_e32 v69, v69, v5                                 // 000000008120: 0A8A0B45
	v_mul_f32_e32 v70, v70, v6                                 // 000000008124: 0A8C0D46
	v_mul_f32_e32 v71, v71, v7                                 // 000000008128: 0A8E0F47
	v_mul_f32_e32 v68, v68, v108                               // 00000000812C: 0A88D944
	v_mul_f32_e32 v69, v69, v109                               // 000000008130: 0A8ADB45
	v_mul_f32_e32 v70, v70, v110                               // 000000008134: 0A8CDD46
	v_mul_f32_e32 v71, v71, v111                               // 000000008138: 0A8EDF47
	v_mul_f32_e64 v4, -v72, s6                                 // 00000000813C: D1050004 20000D48
	v_mul_f32_e64 v5, -v73, s6                                 // 000000008144: D1050005 20000D49
	v_mul_f32_e64 v6, -v74, s6                                 // 00000000814C: D1050006 20000D4A
	v_mul_f32_e64 v7, -v75, s6                                 // 000000008154: D1050007 20000D4B
	v_exp_f32_e32 v4, v4                                       // 00000000815C: 7E084104
	v_exp_f32_e32 v5, v5                                       // 000000008160: 7E0A4105
	v_exp_f32_e32 v6, v6                                       // 000000008164: 7E0C4106
	v_exp_f32_e32 v7, v7                                       // 000000008168: 7E0E4107
	v_add_f32_e64 v4, v4, 1.0                                  // 00000000816C: D1010004 0001E504
	v_add_f32_e64 v5, v5, 1.0                                  // 000000008174: D1010005 0001E505
	v_add_f32_e64 v6, v6, 1.0                                  // 00000000817C: D1010006 0001E506
	v_add_f32_e64 v7, v7, 1.0                                  // 000000008184: D1010007 0001E507
	v_rcp_f32_e32 v4, v4                                       // 00000000818C: 7E084504
	v_rcp_f32_e32 v5, v5                                       // 000000008190: 7E0A4505
	v_rcp_f32_e32 v6, v6                                       // 000000008194: 7E0C4506
	v_rcp_f32_e32 v7, v7                                       // 000000008198: 7E0E4507
	v_mul_f32_e32 v72, v72, v4                                 // 00000000819C: 0A900948
	v_mul_f32_e32 v73, v73, v5                                 // 0000000081A0: 0A920B49
	v_mul_f32_e32 v74, v74, v6                                 // 0000000081A4: 0A940D4A
	v_mul_f32_e32 v75, v75, v7                                 // 0000000081A8: 0A960F4B
	v_mul_f32_e32 v72, v72, v112                               // 0000000081AC: 0A90E148
	v_mul_f32_e32 v73, v73, v113                               // 0000000081B0: 0A92E349
	v_mul_f32_e32 v74, v74, v114                               // 0000000081B4: 0A94E54A
	v_mul_f32_e32 v75, v75, v115                               // 0000000081B8: 0A96E74B
	v_mul_f32_e64 v4, -v76, s6                                 // 0000000081BC: D1050004 20000D4C
	v_mul_f32_e64 v5, -v77, s6                                 // 0000000081C4: D1050005 20000D4D
	v_mul_f32_e64 v6, -v78, s6                                 // 0000000081CC: D1050006 20000D4E
	v_mul_f32_e64 v7, -v79, s6                                 // 0000000081D4: D1050007 20000D4F
	v_exp_f32_e32 v4, v4                                       // 0000000081DC: 7E084104
	v_exp_f32_e32 v5, v5                                       // 0000000081E0: 7E0A4105
	v_exp_f32_e32 v6, v6                                       // 0000000081E4: 7E0C4106
	v_exp_f32_e32 v7, v7                                       // 0000000081E8: 7E0E4107
	v_add_f32_e64 v4, v4, 1.0                                  // 0000000081EC: D1010004 0001E504
	v_add_f32_e64 v5, v5, 1.0                                  // 0000000081F4: D1010005 0001E505
	v_add_f32_e64 v6, v6, 1.0                                  // 0000000081FC: D1010006 0001E506
	v_add_f32_e64 v7, v7, 1.0                                  // 000000008204: D1010007 0001E507
	v_rcp_f32_e32 v4, v4                                       // 00000000820C: 7E084504
	v_rcp_f32_e32 v5, v5                                       // 000000008210: 7E0A4505
	v_rcp_f32_e32 v6, v6                                       // 000000008214: 7E0C4506
	v_rcp_f32_e32 v7, v7                                       // 000000008218: 7E0E4507
	v_mul_f32_e32 v76, v76, v4                                 // 00000000821C: 0A98094C
	v_mul_f32_e32 v77, v77, v5                                 // 000000008220: 0A9A0B4D
	v_mul_f32_e32 v78, v78, v6                                 // 000000008224: 0A9C0D4E
	v_mul_f32_e32 v79, v79, v7                                 // 000000008228: 0A9E0F4F
	v_mul_f32_e32 v76, v76, v116                               // 00000000822C: 0A98E94C
	v_mul_f32_e32 v77, v77, v117                               // 000000008230: 0A9AEB4D
	v_mul_f32_e32 v78, v78, v118                               // 000000008234: 0A9CED4E
	v_mul_f32_e32 v79, v79, v119                               // 000000008238: 0A9EEF4F
	v_mul_f32_e64 v4, -v80, s6                                 // 00000000823C: D1050004 20000D50
	v_mul_f32_e64 v5, -v81, s6                                 // 000000008244: D1050005 20000D51
	v_mul_f32_e64 v6, -v82, s6                                 // 00000000824C: D1050006 20000D52
	v_mul_f32_e64 v7, -v83, s6                                 // 000000008254: D1050007 20000D53
	v_exp_f32_e32 v4, v4                                       // 00000000825C: 7E084104
	v_exp_f32_e32 v5, v5                                       // 000000008260: 7E0A4105
	v_exp_f32_e32 v6, v6                                       // 000000008264: 7E0C4106
	v_exp_f32_e32 v7, v7                                       // 000000008268: 7E0E4107
	v_add_f32_e64 v4, v4, 1.0                                  // 00000000826C: D1010004 0001E504
	v_add_f32_e64 v5, v5, 1.0                                  // 000000008274: D1010005 0001E505
	v_add_f32_e64 v6, v6, 1.0                                  // 00000000827C: D1010006 0001E506
	v_add_f32_e64 v7, v7, 1.0                                  // 000000008284: D1010007 0001E507
	v_rcp_f32_e32 v4, v4                                       // 00000000828C: 7E084504
	v_rcp_f32_e32 v5, v5                                       // 000000008290: 7E0A4505
	v_rcp_f32_e32 v6, v6                                       // 000000008294: 7E0C4506
	v_rcp_f32_e32 v7, v7                                       // 000000008298: 7E0E4507
	v_mul_f32_e32 v80, v80, v4                                 // 00000000829C: 0AA00950
	v_mul_f32_e32 v81, v81, v5                                 // 0000000082A0: 0AA20B51
	v_mul_f32_e32 v82, v82, v6                                 // 0000000082A4: 0AA40D52
	v_mul_f32_e32 v83, v83, v7                                 // 0000000082A8: 0AA60F53
	v_mul_f32_e32 v80, v80, v120                               // 0000000082AC: 0AA0F150
	v_mul_f32_e32 v81, v81, v121                               // 0000000082B0: 0AA2F351
	v_mul_f32_e32 v82, v82, v122                               // 0000000082B4: 0AA4F552
	v_mul_f32_e32 v83, v83, v123                               // 0000000082B8: 0AA6F753
	v_mul_f32_e64 v4, -v84, s6                                 // 0000000082BC: D1050004 20000D54
	v_mul_f32_e64 v5, -v85, s6                                 // 0000000082C4: D1050005 20000D55
	v_mul_f32_e64 v6, -v86, s6                                 // 0000000082CC: D1050006 20000D56
	v_mul_f32_e64 v7, -v87, s6                                 // 0000000082D4: D1050007 20000D57
	v_exp_f32_e32 v4, v4                                       // 0000000082DC: 7E084104
	v_exp_f32_e32 v5, v5                                       // 0000000082E0: 7E0A4105
	v_exp_f32_e32 v6, v6                                       // 0000000082E4: 7E0C4106
	v_exp_f32_e32 v7, v7                                       // 0000000082E8: 7E0E4107
	v_add_f32_e64 v4, v4, 1.0                                  // 0000000082EC: D1010004 0001E504
	v_add_f32_e64 v5, v5, 1.0                                  // 0000000082F4: D1010005 0001E505
	v_add_f32_e64 v6, v6, 1.0                                  // 0000000082FC: D1010006 0001E506
	v_add_f32_e64 v7, v7, 1.0                                  // 000000008304: D1010007 0001E507
	v_rcp_f32_e32 v4, v4                                       // 00000000830C: 7E084504
	v_rcp_f32_e32 v5, v5                                       // 000000008310: 7E0A4505
	v_rcp_f32_e32 v6, v6                                       // 000000008314: 7E0C4506
	v_rcp_f32_e32 v7, v7                                       // 000000008318: 7E0E4507
	v_mul_f32_e32 v84, v84, v4                                 // 00000000831C: 0AA80954
	v_mul_f32_e32 v85, v85, v5                                 // 000000008320: 0AAA0B55
	v_mul_f32_e32 v86, v86, v6                                 // 000000008324: 0AAC0D56
	v_mul_f32_e32 v87, v87, v7                                 // 000000008328: 0AAE0F57
	v_mul_f32_e32 v84, v84, v124                               // 00000000832C: 0AA8F954
	v_mul_f32_e32 v85, v85, v125                               // 000000008330: 0AAAFB55
	v_mul_f32_e32 v86, v86, v126                               // 000000008334: 0AACFD56
	v_mul_f32_e32 v87, v87, v127                               // 000000008338: 0AAEFF57
	v_mul_f32_e64 v4, -v88, s6                                 // 00000000833C: D1050004 20000D58
	v_mul_f32_e64 v5, -v89, s6                                 // 000000008344: D1050005 20000D59
	v_mul_f32_e64 v6, -v90, s6                                 // 00000000834C: D1050006 20000D5A
	v_mul_f32_e64 v7, -v91, s6                                 // 000000008354: D1050007 20000D5B
	v_exp_f32_e32 v4, v4                                       // 00000000835C: 7E084104
	v_exp_f32_e32 v5, v5                                       // 000000008360: 7E0A4105
	v_exp_f32_e32 v6, v6                                       // 000000008364: 7E0C4106
	v_exp_f32_e32 v7, v7                                       // 000000008368: 7E0E4107
	v_add_f32_e64 v4, v4, 1.0                                  // 00000000836C: D1010004 0001E504
	v_add_f32_e64 v5, v5, 1.0                                  // 000000008374: D1010005 0001E505
	v_add_f32_e64 v6, v6, 1.0                                  // 00000000837C: D1010006 0001E506
	v_add_f32_e64 v7, v7, 1.0                                  // 000000008384: D1010007 0001E507
	v_rcp_f32_e32 v4, v4                                       // 00000000838C: 7E084504
	v_rcp_f32_e32 v5, v5                                       // 000000008390: 7E0A4505
	v_rcp_f32_e32 v6, v6                                       // 000000008394: 7E0C4506
	v_rcp_f32_e32 v7, v7                                       // 000000008398: 7E0E4507
	v_mul_f32_e32 v88, v88, v4                                 // 00000000839C: 0AB00958
	v_mul_f32_e32 v89, v89, v5                                 // 0000000083A0: 0AB20B59
	v_mul_f32_e32 v90, v90, v6                                 // 0000000083A4: 0AB40D5A
	v_mul_f32_e32 v91, v91, v7                                 // 0000000083A8: 0AB60F5B
	v_mul_f32_e32 v88, v88, v128                               // 0000000083AC: 0AB10158
	v_mul_f32_e32 v89, v89, v129                               // 0000000083B0: 0AB30359
	v_mul_f32_e32 v90, v90, v130                               // 0000000083B4: 0AB5055A
	v_mul_f32_e32 v91, v91, v131                               // 0000000083B8: 0AB7075B
	v_mul_f32_e64 v4, -v92, s6                                 // 0000000083BC: D1050004 20000D5C
	v_mul_f32_e64 v5, -v93, s6                                 // 0000000083C4: D1050005 20000D5D
	v_mul_f32_e64 v6, -v94, s6                                 // 0000000083CC: D1050006 20000D5E
	v_mul_f32_e64 v7, -v95, s6                                 // 0000000083D4: D1050007 20000D5F
	v_exp_f32_e32 v4, v4                                       // 0000000083DC: 7E084104
	v_exp_f32_e32 v5, v5                                       // 0000000083E0: 7E0A4105
	v_exp_f32_e32 v6, v6                                       // 0000000083E4: 7E0C4106
	v_exp_f32_e32 v7, v7                                       // 0000000083E8: 7E0E4107
	v_add_f32_e64 v4, v4, 1.0                                  // 0000000083EC: D1010004 0001E504
	v_add_f32_e64 v5, v5, 1.0                                  // 0000000083F4: D1010005 0001E505
	v_add_f32_e64 v6, v6, 1.0                                  // 0000000083FC: D1010006 0001E506
	v_add_f32_e64 v7, v7, 1.0                                  // 000000008404: D1010007 0001E507
	v_rcp_f32_e32 v4, v4                                       // 00000000840C: 7E084504
	v_rcp_f32_e32 v5, v5                                       // 000000008410: 7E0A4505
	v_rcp_f32_e32 v6, v6                                       // 000000008414: 7E0C4506
	v_rcp_f32_e32 v7, v7                                       // 000000008418: 7E0E4507
	v_mul_f32_e32 v92, v92, v4                                 // 00000000841C: 0AB8095C
	v_mul_f32_e32 v93, v93, v5                                 // 000000008420: 0ABA0B5D
	v_mul_f32_e32 v94, v94, v6                                 // 000000008424: 0ABC0D5E
	v_mul_f32_e32 v95, v95, v7                                 // 000000008428: 0ABE0F5F
	v_mul_f32_e32 v92, v92, v132                               // 00000000842C: 0AB9095C
	v_mul_f32_e32 v93, v93, v133                               // 000000008430: 0ABB0B5D
	v_mul_f32_e32 v94, v94, v134                               // 000000008434: 0ABD0D5E
	v_mul_f32_e32 v95, v95, v135                               // 000000008438: 0ABF0F5F
	v_mul_f32_e64 v4, -v96, s6                                 // 00000000843C: D1050004 20000D60
	v_mul_f32_e64 v5, -v97, s6                                 // 000000008444: D1050005 20000D61
	v_mul_f32_e64 v6, -v98, s6                                 // 00000000844C: D1050006 20000D62
	v_mul_f32_e64 v7, -v99, s6                                 // 000000008454: D1050007 20000D63
	v_exp_f32_e32 v4, v4                                       // 00000000845C: 7E084104
	v_exp_f32_e32 v5, v5                                       // 000000008460: 7E0A4105
	v_exp_f32_e32 v6, v6                                       // 000000008464: 7E0C4106
	v_exp_f32_e32 v7, v7                                       // 000000008468: 7E0E4107
	v_add_f32_e64 v4, v4, 1.0                                  // 00000000846C: D1010004 0001E504
	v_add_f32_e64 v5, v5, 1.0                                  // 000000008474: D1010005 0001E505
	v_add_f32_e64 v6, v6, 1.0                                  // 00000000847C: D1010006 0001E506
	v_add_f32_e64 v7, v7, 1.0                                  // 000000008484: D1010007 0001E507
	v_rcp_f32_e32 v4, v4                                       // 00000000848C: 7E084504
	v_rcp_f32_e32 v5, v5                                       // 000000008490: 7E0A4505
	v_rcp_f32_e32 v6, v6                                       // 000000008494: 7E0C4506
	v_rcp_f32_e32 v7, v7                                       // 000000008498: 7E0E4507
	v_mul_f32_e32 v96, v96, v4                                 // 00000000849C: 0AC00960
	v_mul_f32_e32 v97, v97, v5                                 // 0000000084A0: 0AC20B61
	v_mul_f32_e32 v98, v98, v6                                 // 0000000084A4: 0AC40D62
	v_mul_f32_e32 v99, v99, v7                                 // 0000000084A8: 0AC60F63
	v_mul_f32_e32 v96, v96, v136                               // 0000000084AC: 0AC11160
	v_mul_f32_e32 v97, v97, v137                               // 0000000084B0: 0AC31361
	v_mul_f32_e32 v98, v98, v138                               // 0000000084B4: 0AC51562
	v_mul_f32_e32 v99, v99, v139                               // 0000000084B8: 0AC71763

00000000000084bc <label_16B2>:
	v_cmp_u_f32_e64 s[46:47], v60, v60                         // 0000000084BC: D048002E 0002793C
	v_add3_u32 v16, v60, v19, 1                                // 0000000084C4: D1FF0010 0206273C
	v_cndmask_b32_e64 v4, v16, v18, s[46:47]                   // 0000000084CC: D1000004 00BA2510
	v_cmp_u_f32_e64 s[46:47], v61, v61                         // 0000000084D4: D048002E 00027B3D
	v_add3_u32 v16, v61, v19, 1                                // 0000000084DC: D1FF0010 0206273D
	v_cndmask_b32_e64 v5, v16, v18, s[46:47]                   // 0000000084E4: D1000005 00BA2510
	v_perm_b32 v60, v5, v4, s52                                // 0000000084EC: D1ED003C 00D20905
	v_cmp_u_f32_e64 s[46:47], v62, v62                         // 0000000084F4: D048002E 00027D3E
	v_add3_u32 v16, v62, v19, 1                                // 0000000084FC: D1FF0010 0206273E
	v_cndmask_b32_e64 v4, v16, v18, s[46:47]                   // 000000008504: D1000004 00BA2510
	v_cmp_u_f32_e64 s[46:47], v63, v63                         // 00000000850C: D048002E 00027F3F
	v_add3_u32 v16, v63, v19, 1                                // 000000008514: D1FF0010 0206273F
	v_cndmask_b32_e64 v5, v16, v18, s[46:47]                   // 00000000851C: D1000005 00BA2510
	v_perm_b32 v61, v5, v4, s52                                // 000000008524: D1ED003D 00D20905
	v_cmp_u_f32_e64 s[46:47], v64, v64                         // 00000000852C: D048002E 00028140
	v_add3_u32 v16, v64, v19, 1                                // 000000008534: D1FF0010 02062740
	v_cndmask_b32_e64 v4, v16, v18, s[46:47]                   // 00000000853C: D1000004 00BA2510
	v_cmp_u_f32_e64 s[46:47], v65, v65                         // 000000008544: D048002E 00028341
	v_add3_u32 v16, v65, v19, 1                                // 00000000854C: D1FF0010 02062741
	v_cndmask_b32_e64 v5, v16, v18, s[46:47]                   // 000000008554: D1000005 00BA2510
	v_perm_b32 v62, v5, v4, s52                                // 00000000855C: D1ED003E 00D20905
	v_cmp_u_f32_e64 s[46:47], v66, v66                         // 000000008564: D048002E 00028542
	v_add3_u32 v16, v66, v19, 1                                // 00000000856C: D1FF0010 02062742
	v_cndmask_b32_e64 v4, v16, v18, s[46:47]                   // 000000008574: D1000004 00BA2510
	v_cmp_u_f32_e64 s[46:47], v67, v67                         // 00000000857C: D048002E 00028743
	v_add3_u32 v16, v67, v19, 1                                // 000000008584: D1FF0010 02062743
	v_cndmask_b32_e64 v5, v16, v18, s[46:47]                   // 00000000858C: D1000005 00BA2510
	v_perm_b32 v63, v5, v4, s52                                // 000000008594: D1ED003F 00D20905
	v_cmp_u_f32_e64 s[46:47], v68, v68                         // 00000000859C: D048002E 00028944
	v_add3_u32 v16, v68, v19, 1                                // 0000000085A4: D1FF0010 02062744
	v_cndmask_b32_e64 v4, v16, v18, s[46:47]                   // 0000000085AC: D1000004 00BA2510
	v_cmp_u_f32_e64 s[46:47], v69, v69                         // 0000000085B4: D048002E 00028B45
	v_add3_u32 v16, v69, v19, 1                                // 0000000085BC: D1FF0010 02062745
	v_cndmask_b32_e64 v5, v16, v18, s[46:47]                   // 0000000085C4: D1000005 00BA2510
	v_perm_b32 v64, v5, v4, s52                                // 0000000085CC: D1ED0040 00D20905
	v_cmp_u_f32_e64 s[46:47], v70, v70                         // 0000000085D4: D048002E 00028D46
	v_add3_u32 v16, v70, v19, 1                                // 0000000085DC: D1FF0010 02062746
	v_cndmask_b32_e64 v4, v16, v18, s[46:47]                   // 0000000085E4: D1000004 00BA2510
	v_cmp_u_f32_e64 s[46:47], v71, v71                         // 0000000085EC: D048002E 00028F47
	v_add3_u32 v16, v71, v19, 1                                // 0000000085F4: D1FF0010 02062747
	v_cndmask_b32_e64 v5, v16, v18, s[46:47]                   // 0000000085FC: D1000005 00BA2510
	v_perm_b32 v65, v5, v4, s52                                // 000000008604: D1ED0041 00D20905
	v_cmp_u_f32_e64 s[46:47], v72, v72                         // 00000000860C: D048002E 00029148
	v_add3_u32 v16, v72, v19, 1                                // 000000008614: D1FF0010 02062748
	v_cndmask_b32_e64 v4, v16, v18, s[46:47]                   // 00000000861C: D1000004 00BA2510
	v_cmp_u_f32_e64 s[46:47], v73, v73                         // 000000008624: D048002E 00029349
	v_add3_u32 v16, v73, v19, 1                                // 00000000862C: D1FF0010 02062749
	v_cndmask_b32_e64 v5, v16, v18, s[46:47]                   // 000000008634: D1000005 00BA2510
	v_perm_b32 v66, v5, v4, s52                                // 00000000863C: D1ED0042 00D20905
	v_cmp_u_f32_e64 s[46:47], v74, v74                         // 000000008644: D048002E 0002954A
	v_add3_u32 v16, v74, v19, 1                                // 00000000864C: D1FF0010 0206274A
	v_cndmask_b32_e64 v4, v16, v18, s[46:47]                   // 000000008654: D1000004 00BA2510
	v_cmp_u_f32_e64 s[46:47], v75, v75                         // 00000000865C: D048002E 0002974B
	v_add3_u32 v16, v75, v19, 1                                // 000000008664: D1FF0010 0206274B
	v_cndmask_b32_e64 v5, v16, v18, s[46:47]                   // 00000000866C: D1000005 00BA2510
	v_perm_b32 v67, v5, v4, s52                                // 000000008674: D1ED0043 00D20905
	v_cmp_u_f32_e64 s[46:47], v76, v76                         // 00000000867C: D048002E 0002994C
	v_add3_u32 v16, v76, v19, 1                                // 000000008684: D1FF0010 0206274C
	v_cndmask_b32_e64 v4, v16, v18, s[46:47]                   // 00000000868C: D1000004 00BA2510
	v_cmp_u_f32_e64 s[46:47], v77, v77                         // 000000008694: D048002E 00029B4D
	v_add3_u32 v16, v77, v19, 1                                // 00000000869C: D1FF0010 0206274D
	v_cndmask_b32_e64 v5, v16, v18, s[46:47]                   // 0000000086A4: D1000005 00BA2510
	v_perm_b32 v68, v5, v4, s52                                // 0000000086AC: D1ED0044 00D20905
	v_cmp_u_f32_e64 s[46:47], v78, v78                         // 0000000086B4: D048002E 00029D4E
	v_add3_u32 v16, v78, v19, 1                                // 0000000086BC: D1FF0010 0206274E
	v_cndmask_b32_e64 v4, v16, v18, s[46:47]                   // 0000000086C4: D1000004 00BA2510
	v_cmp_u_f32_e64 s[46:47], v79, v79                         // 0000000086CC: D048002E 00029F4F
	v_add3_u32 v16, v79, v19, 1                                // 0000000086D4: D1FF0010 0206274F
	v_cndmask_b32_e64 v5, v16, v18, s[46:47]                   // 0000000086DC: D1000005 00BA2510
	v_perm_b32 v69, v5, v4, s52                                // 0000000086E4: D1ED0045 00D20905
	v_cmp_u_f32_e64 s[46:47], v80, v80                         // 0000000086EC: D048002E 0002A150
	v_add3_u32 v16, v80, v19, 1                                // 0000000086F4: D1FF0010 02062750
	v_cndmask_b32_e64 v4, v16, v18, s[46:47]                   // 0000000086FC: D1000004 00BA2510
	v_cmp_u_f32_e64 s[46:47], v81, v81                         // 000000008704: D048002E 0002A351
	v_add3_u32 v16, v81, v19, 1                                // 00000000870C: D1FF0010 02062751
	v_cndmask_b32_e64 v5, v16, v18, s[46:47]                   // 000000008714: D1000005 00BA2510
	v_perm_b32 v70, v5, v4, s52                                // 00000000871C: D1ED0046 00D20905
	v_cmp_u_f32_e64 s[46:47], v82, v82                         // 000000008724: D048002E 0002A552
	v_add3_u32 v16, v82, v19, 1                                // 00000000872C: D1FF0010 02062752
	v_cndmask_b32_e64 v4, v16, v18, s[46:47]                   // 000000008734: D1000004 00BA2510
	v_cmp_u_f32_e64 s[46:47], v83, v83                         // 00000000873C: D048002E 0002A753
	v_add3_u32 v16, v83, v19, 1                                // 000000008744: D1FF0010 02062753
	v_cndmask_b32_e64 v5, v16, v18, s[46:47]                   // 00000000874C: D1000005 00BA2510
	v_perm_b32 v71, v5, v4, s52                                // 000000008754: D1ED0047 00D20905
	v_cmp_u_f32_e64 s[46:47], v84, v84                         // 00000000875C: D048002E 0002A954
	v_add3_u32 v16, v84, v19, 1                                // 000000008764: D1FF0010 02062754
	v_cndmask_b32_e64 v4, v16, v18, s[46:47]                   // 00000000876C: D1000004 00BA2510
	v_cmp_u_f32_e64 s[46:47], v85, v85                         // 000000008774: D048002E 0002AB55
	v_add3_u32 v16, v85, v19, 1                                // 00000000877C: D1FF0010 02062755
	v_cndmask_b32_e64 v5, v16, v18, s[46:47]                   // 000000008784: D1000005 00BA2510
	v_perm_b32 v72, v5, v4, s52                                // 00000000878C: D1ED0048 00D20905
	v_cmp_u_f32_e64 s[46:47], v86, v86                         // 000000008794: D048002E 0002AD56
	v_add3_u32 v16, v86, v19, 1                                // 00000000879C: D1FF0010 02062756
	v_cndmask_b32_e64 v4, v16, v18, s[46:47]                   // 0000000087A4: D1000004 00BA2510
	v_cmp_u_f32_e64 s[46:47], v87, v87                         // 0000000087AC: D048002E 0002AF57
	v_add3_u32 v16, v87, v19, 1                                // 0000000087B4: D1FF0010 02062757
	v_cndmask_b32_e64 v5, v16, v18, s[46:47]                   // 0000000087BC: D1000005 00BA2510
	v_perm_b32 v73, v5, v4, s52                                // 0000000087C4: D1ED0049 00D20905
	v_cmp_u_f32_e64 s[46:47], v88, v88                         // 0000000087CC: D048002E 0002B158
	v_add3_u32 v16, v88, v19, 1                                // 0000000087D4: D1FF0010 02062758
	v_cndmask_b32_e64 v4, v16, v18, s[46:47]                   // 0000000087DC: D1000004 00BA2510
	v_cmp_u_f32_e64 s[46:47], v89, v89                         // 0000000087E4: D048002E 0002B359
	v_add3_u32 v16, v89, v19, 1                                // 0000000087EC: D1FF0010 02062759
	v_cndmask_b32_e64 v5, v16, v18, s[46:47]                   // 0000000087F4: D1000005 00BA2510
	v_perm_b32 v74, v5, v4, s52                                // 0000000087FC: D1ED004A 00D20905
	v_cmp_u_f32_e64 s[46:47], v90, v90                         // 000000008804: D048002E 0002B55A
	v_add3_u32 v16, v90, v19, 1                                // 00000000880C: D1FF0010 0206275A
	v_cndmask_b32_e64 v4, v16, v18, s[46:47]                   // 000000008814: D1000004 00BA2510
	v_cmp_u_f32_e64 s[46:47], v91, v91                         // 00000000881C: D048002E 0002B75B
	v_add3_u32 v16, v91, v19, 1                                // 000000008824: D1FF0010 0206275B
	v_cndmask_b32_e64 v5, v16, v18, s[46:47]                   // 00000000882C: D1000005 00BA2510
	v_perm_b32 v75, v5, v4, s52                                // 000000008834: D1ED004B 00D20905
	v_cmp_u_f32_e64 s[46:47], v92, v92                         // 00000000883C: D048002E 0002B95C
	v_add3_u32 v16, v92, v19, 1                                // 000000008844: D1FF0010 0206275C
	v_cndmask_b32_e64 v4, v16, v18, s[46:47]                   // 00000000884C: D1000004 00BA2510
	v_cmp_u_f32_e64 s[46:47], v93, v93                         // 000000008854: D048002E 0002BB5D
	v_add3_u32 v16, v93, v19, 1                                // 00000000885C: D1FF0010 0206275D
	v_cndmask_b32_e64 v5, v16, v18, s[46:47]                   // 000000008864: D1000005 00BA2510
	v_perm_b32 v76, v5, v4, s52                                // 00000000886C: D1ED004C 00D20905
	v_cmp_u_f32_e64 s[46:47], v94, v94                         // 000000008874: D048002E 0002BD5E
	v_add3_u32 v16, v94, v19, 1                                // 00000000887C: D1FF0010 0206275E
	v_cndmask_b32_e64 v4, v16, v18, s[46:47]                   // 000000008884: D1000004 00BA2510
	v_cmp_u_f32_e64 s[46:47], v95, v95                         // 00000000888C: D048002E 0002BF5F
	v_add3_u32 v16, v95, v19, 1                                // 000000008894: D1FF0010 0206275F
	v_cndmask_b32_e64 v5, v16, v18, s[46:47]                   // 00000000889C: D1000005 00BA2510
	v_perm_b32 v77, v5, v4, s52                                // 0000000088A4: D1ED004D 00D20905
	v_cmp_u_f32_e64 s[46:47], v96, v96                         // 0000000088AC: D048002E 0002C160
	v_add3_u32 v16, v96, v19, 1                                // 0000000088B4: D1FF0010 02062760
	v_cndmask_b32_e64 v4, v16, v18, s[46:47]                   // 0000000088BC: D1000004 00BA2510
	v_cmp_u_f32_e64 s[46:47], v97, v97                         // 0000000088C4: D048002E 0002C361
	v_add3_u32 v16, v97, v19, 1                                // 0000000088CC: D1FF0010 02062761
	v_cndmask_b32_e64 v5, v16, v18, s[46:47]                   // 0000000088D4: D1000005 00BA2510
	v_perm_b32 v78, v5, v4, s52                                // 0000000088DC: D1ED004E 00D20905
	v_cmp_u_f32_e64 s[46:47], v98, v98                         // 0000000088E4: D048002E 0002C562
	v_add3_u32 v16, v98, v19, 1                                // 0000000088EC: D1FF0010 02062762
	v_cndmask_b32_e64 v4, v16, v18, s[46:47]                   // 0000000088F4: D1000004 00BA2510
	v_cmp_u_f32_e64 s[46:47], v99, v99                         // 0000000088FC: D048002E 0002C763
	v_add3_u32 v16, v99, v19, 1                                // 000000008904: D1FF0010 02062763
	v_cndmask_b32_e64 v5, v16, v18, s[46:47]                   // 00000000890C: D1000005 00BA2510
	v_perm_b32 v79, v5, v4, s52                                // 000000008914: D1ED004F 00D20905
	ds_write_b64 v20, v[60:61]                                 // 00000000891C: D89A0000 00003C14
	ds_write_b64 v20, v[62:63] offset:4352                     // 000000008924: D89A1100 00003E14
	ds_write_b64 v20, v[64:65] offset:8704                     // 00000000892C: D89A2200 00004014
	ds_write_b64 v20, v[66:67] offset:13056                    // 000000008934: D89A3300 00004214
	ds_write_b64 v20, v[68:69] offset:17408                    // 00000000893C: D89A4400 00004414
	ds_write_b64 v20, v[70:71] offset:2176                     // 000000008944: D89A0880 00004614
	ds_write_b64 v20, v[72:73] offset:6528                     // 00000000894C: D89A1980 00004814
	ds_write_b64 v20, v[74:75] offset:10880                    // 000000008954: D89A2A80 00004A14
	ds_write_b64 v20, v[76:77] offset:15232                    // 00000000895C: D89A3B80 00004C14
	ds_write_b64 v20, v[78:79] offset:19584                    // 000000008964: D89A4C80 00004E14
	v_lshrrev_b32_e32 v4, 5, v0                                // 00000000896C: 20080085
	v_xor_b32_e32 v5, 1, v4                                    // 000000008970: 2A0A0881
	s_mul_i32 s60, s65, 2                                      // 000000008974: 923C8241
	s_cmp_eq_u32 s88, 0                                        // 000000008978: BF068058
	s_cselect_b32 s61, 1, 4                                    // 00000000897C: 853D8481
	s_mul_i32 s60, s61, s60                                    // 000000008980: 923C3C3D
	v_readlane_b32 s82, v3, 0                                  // 000000008984: D2890052 00010103
	s_lshr_b32 s61, s82, 24                                    // 00000000898C: 8F3D9852
	s_and_b32 s82, s82, 0xffffff                               // 000000008990: 8652FF52 00FFFFFF
	s_mul_i32 s82, s82, s71                                    // 000000008998: 92524752
	s_mul_i32 s61, s60, s61                                    // 00000000899C: 923D3D3C
	s_add_u32 s82, s82, s61                                    // 0000000089A0: 80523D52
	v_mul_lo_u32 v6, v5, s82                                   // 0000000089A4: D2850006 0000A505
	v_readlane_b32 s82, v3, 1                                  // 0000000089AC: D2890052 00010303
	s_lshr_b32 s61, s82, 24                                    // 0000000089B4: 8F3D9852
	s_and_b32 s82, s82, 0xffffff                               // 0000000089B8: 8652FF52 00FFFFFF
	s_mul_i32 s82, s82, s71                                    // 0000000089C0: 92524752
	s_mul_i32 s61, s60, s61                                    // 0000000089C4: 923D3D3C
	s_add_u32 s82, s82, s61                                    // 0000000089C8: 80523D52
	v_mul_lo_u32 v7, v4, s82                                   // 0000000089CC: D2850007 0000A504
	v_add_u32_e32 v48, v6, v7                                  // 0000000089D4: 68600F06
	v_readlane_b32 s82, v3, 2                                  // 0000000089D8: D2890052 00010503
	s_lshr_b32 s61, s82, 24                                    // 0000000089E0: 8F3D9852
	s_and_b32 s82, s82, 0xffffff                               // 0000000089E4: 8652FF52 00FFFFFF
	s_mul_i32 s82, s82, s71                                    // 0000000089EC: 92524752
	s_mul_i32 s61, s60, s61                                    // 0000000089F0: 923D3D3C
	s_add_u32 s82, s82, s61                                    // 0000000089F4: 80523D52
	v_mul_lo_u32 v6, v5, s82                                   // 0000000089F8: D2850006 0000A505
	v_readlane_b32 s82, v3, 3                                  // 000000008A00: D2890052 00010703
	s_lshr_b32 s61, s82, 24                                    // 000000008A08: 8F3D9852
	s_and_b32 s82, s82, 0xffffff                               // 000000008A0C: 8652FF52 00FFFFFF
	s_mul_i32 s82, s82, s71                                    // 000000008A14: 92524752
	s_mul_i32 s61, s60, s61                                    // 000000008A18: 923D3D3C
	s_add_u32 s82, s82, s61                                    // 000000008A1C: 80523D52
	v_mul_lo_u32 v7, v4, s82                                   // 000000008A20: D2850007 0000A504
	v_add_u32_e32 v49, v6, v7                                  // 000000008A28: 68620F06
	v_readlane_b32 s82, v3, 4                                  // 000000008A2C: D2890052 00010903
	s_lshr_b32 s61, s82, 24                                    // 000000008A34: 8F3D9852
	s_and_b32 s82, s82, 0xffffff                               // 000000008A38: 8652FF52 00FFFFFF
	s_mul_i32 s82, s82, s71                                    // 000000008A40: 92524752
	s_mul_i32 s61, s60, s61                                    // 000000008A44: 923D3D3C
	s_add_u32 s82, s82, s61                                    // 000000008A48: 80523D52
	v_mul_lo_u32 v6, v5, s82                                   // 000000008A4C: D2850006 0000A505
	v_readlane_b32 s82, v3, 5                                  // 000000008A54: D2890052 00010B03
	s_lshr_b32 s61, s82, 24                                    // 000000008A5C: 8F3D9852
	s_and_b32 s82, s82, 0xffffff                               // 000000008A60: 8652FF52 00FFFFFF
	s_mul_i32 s82, s82, s71                                    // 000000008A68: 92524752
	s_mul_i32 s61, s60, s61                                    // 000000008A6C: 923D3D3C
	s_add_u32 s82, s82, s61                                    // 000000008A70: 80523D52
	v_mul_lo_u32 v7, v4, s82                                   // 000000008A74: D2850007 0000A504
	v_add_u32_e32 v50, v6, v7                                  // 000000008A7C: 68640F06
	v_readlane_b32 s82, v3, 6                                  // 000000008A80: D2890052 00010D03
	s_lshr_b32 s61, s82, 24                                    // 000000008A88: 8F3D9852
	s_and_b32 s82, s82, 0xffffff                               // 000000008A8C: 8652FF52 00FFFFFF
	s_mul_i32 s82, s82, s71                                    // 000000008A94: 92524752
	s_mul_i32 s61, s60, s61                                    // 000000008A98: 923D3D3C
	s_add_u32 s82, s82, s61                                    // 000000008A9C: 80523D52
	v_mul_lo_u32 v6, v5, s82                                   // 000000008AA0: D2850006 0000A505
	v_readlane_b32 s82, v3, 7                                  // 000000008AA8: D2890052 00010F03
	s_lshr_b32 s61, s82, 24                                    // 000000008AB0: 8F3D9852
	s_and_b32 s82, s82, 0xffffff                               // 000000008AB4: 8652FF52 00FFFFFF
	s_mul_i32 s82, s82, s71                                    // 000000008ABC: 92524752
	s_mul_i32 s61, s60, s61                                    // 000000008AC0: 923D3D3C
	s_add_u32 s82, s82, s61                                    // 000000008AC4: 80523D52
	v_mul_lo_u32 v7, v4, s82                                   // 000000008AC8: D2850007 0000A504
	v_add_u32_e32 v51, v6, v7                                  // 000000008AD0: 68660F06
	v_readlane_b32 s82, v3, 8                                  // 000000008AD4: D2890052 00011103
	s_lshr_b32 s61, s82, 24                                    // 000000008ADC: 8F3D9852
	s_and_b32 s82, s82, 0xffffff                               // 000000008AE0: 8652FF52 00FFFFFF
	s_mul_i32 s82, s82, s71                                    // 000000008AE8: 92524752
	s_mul_i32 s61, s60, s61                                    // 000000008AEC: 923D3D3C
	s_add_u32 s82, s82, s61                                    // 000000008AF0: 80523D52
	v_mul_lo_u32 v6, v5, s82                                   // 000000008AF4: D2850006 0000A505
	v_readlane_b32 s82, v3, 9                                  // 000000008AFC: D2890052 00011303
	s_lshr_b32 s61, s82, 24                                    // 000000008B04: 8F3D9852
	s_and_b32 s82, s82, 0xffffff                               // 000000008B08: 8652FF52 00FFFFFF
	s_mul_i32 s82, s82, s71                                    // 000000008B10: 92524752
	s_mul_i32 s61, s60, s61                                    // 000000008B14: 923D3D3C
	s_add_u32 s82, s82, s61                                    // 000000008B18: 80523D52
	v_mul_lo_u32 v7, v4, s82                                   // 000000008B1C: D2850007 0000A504
	v_add_u32_e32 v52, v6, v7                                  // 000000008B24: 68680F06
	v_readlane_b32 s82, v3, 10                                 // 000000008B28: D2890052 00011503
	s_lshr_b32 s61, s82, 24                                    // 000000008B30: 8F3D9852
	s_and_b32 s82, s82, 0xffffff                               // 000000008B34: 8652FF52 00FFFFFF
	s_mul_i32 s82, s82, s71                                    // 000000008B3C: 92524752
	s_mul_i32 s61, s60, s61                                    // 000000008B40: 923D3D3C
	s_add_u32 s82, s82, s61                                    // 000000008B44: 80523D52
	v_mul_lo_u32 v6, v5, s82                                   // 000000008B48: D2850006 0000A505
	v_readlane_b32 s82, v3, 11                                 // 000000008B50: D2890052 00011703
	s_lshr_b32 s61, s82, 24                                    // 000000008B58: 8F3D9852
	s_and_b32 s82, s82, 0xffffff                               // 000000008B5C: 8652FF52 00FFFFFF
	s_mul_i32 s82, s82, s71                                    // 000000008B64: 92524752
	s_mul_i32 s61, s60, s61                                    // 000000008B68: 923D3D3C
	s_add_u32 s82, s82, s61                                    // 000000008B6C: 80523D52
	v_mul_lo_u32 v7, v4, s82                                   // 000000008B70: D2850007 0000A504
	v_add_u32_e32 v53, v6, v7                                  // 000000008B78: 686A0F06
	v_readlane_b32 s82, v3, 12                                 // 000000008B7C: D2890052 00011903
	s_lshr_b32 s61, s82, 24                                    // 000000008B84: 8F3D9852
	s_and_b32 s82, s82, 0xffffff                               // 000000008B88: 8652FF52 00FFFFFF
	s_mul_i32 s82, s82, s71                                    // 000000008B90: 92524752
	s_mul_i32 s61, s60, s61                                    // 000000008B94: 923D3D3C
	s_add_u32 s82, s82, s61                                    // 000000008B98: 80523D52
	v_mul_lo_u32 v6, v5, s82                                   // 000000008B9C: D2850006 0000A505
	v_readlane_b32 s82, v3, 13                                 // 000000008BA4: D2890052 00011B03
	s_lshr_b32 s61, s82, 24                                    // 000000008BAC: 8F3D9852
	s_and_b32 s82, s82, 0xffffff                               // 000000008BB0: 8652FF52 00FFFFFF
	s_mul_i32 s82, s82, s71                                    // 000000008BB8: 92524752
	s_mul_i32 s61, s60, s61                                    // 000000008BBC: 923D3D3C
	s_add_u32 s82, s82, s61                                    // 000000008BC0: 80523D52
	v_mul_lo_u32 v7, v4, s82                                   // 000000008BC4: D2850007 0000A504
	v_add_u32_e32 v54, v6, v7                                  // 000000008BCC: 686C0F06
	v_readlane_b32 s82, v3, 14                                 // 000000008BD0: D2890052 00011D03
	s_lshr_b32 s61, s82, 24                                    // 000000008BD8: 8F3D9852
	s_and_b32 s82, s82, 0xffffff                               // 000000008BDC: 8652FF52 00FFFFFF
	s_mul_i32 s82, s82, s71                                    // 000000008BE4: 92524752
	s_mul_i32 s61, s60, s61                                    // 000000008BE8: 923D3D3C
	s_add_u32 s82, s82, s61                                    // 000000008BEC: 80523D52
	v_mul_lo_u32 v6, v5, s82                                   // 000000008BF0: D2850006 0000A505
	v_readlane_b32 s82, v3, 15                                 // 000000008BF8: D2890052 00011F03
	s_lshr_b32 s61, s82, 24                                    // 000000008C00: 8F3D9852
	s_and_b32 s82, s82, 0xffffff                               // 000000008C04: 8652FF52 00FFFFFF
	s_mul_i32 s82, s82, s71                                    // 000000008C0C: 92524752
	s_mul_i32 s61, s60, s61                                    // 000000008C10: 923D3D3C
	s_add_u32 s82, s82, s61                                    // 000000008C14: 80523D52
	v_mul_lo_u32 v7, v4, s82                                   // 000000008C18: D2850007 0000A504
	v_add_u32_e32 v55, v6, v7                                  // 000000008C20: 686E0F06
	v_readlane_b32 s82, v3, 16                                 // 000000008C24: D2890052 00012103
	s_lshr_b32 s61, s82, 24                                    // 000000008C2C: 8F3D9852
	s_and_b32 s82, s82, 0xffffff                               // 000000008C30: 8652FF52 00FFFFFF
	s_mul_i32 s82, s82, s71                                    // 000000008C38: 92524752
	s_mul_i32 s61, s60, s61                                    // 000000008C3C: 923D3D3C
	s_add_u32 s82, s82, s61                                    // 000000008C40: 80523D52
	v_mul_lo_u32 v6, v5, s82                                   // 000000008C44: D2850006 0000A505
	v_readlane_b32 s82, v3, 17                                 // 000000008C4C: D2890052 00012303
	s_lshr_b32 s61, s82, 24                                    // 000000008C54: 8F3D9852
	s_and_b32 s82, s82, 0xffffff                               // 000000008C58: 8652FF52 00FFFFFF
	s_mul_i32 s82, s82, s71                                    // 000000008C60: 92524752
	s_mul_i32 s61, s60, s61                                    // 000000008C64: 923D3D3C
	s_add_u32 s82, s82, s61                                    // 000000008C68: 80523D52
	v_mul_lo_u32 v7, v4, s82                                   // 000000008C6C: D2850007 0000A504
	v_add_u32_e32 v56, v6, v7                                  // 000000008C74: 68700F06
	v_readlane_b32 s82, v3, 18                                 // 000000008C78: D2890052 00012503
	s_lshr_b32 s61, s82, 24                                    // 000000008C80: 8F3D9852
	s_and_b32 s82, s82, 0xffffff                               // 000000008C84: 8652FF52 00FFFFFF
	s_mul_i32 s82, s82, s71                                    // 000000008C8C: 92524752
	s_mul_i32 s61, s60, s61                                    // 000000008C90: 923D3D3C
	s_add_u32 s82, s82, s61                                    // 000000008C94: 80523D52
	v_mul_lo_u32 v6, v5, s82                                   // 000000008C98: D2850006 0000A505
	v_readlane_b32 s82, v3, 19                                 // 000000008CA0: D2890052 00012703
	s_lshr_b32 s61, s82, 24                                    // 000000008CA8: 8F3D9852
	s_and_b32 s82, s82, 0xffffff                               // 000000008CAC: 8652FF52 00FFFFFF
	s_mul_i32 s82, s82, s71                                    // 000000008CB4: 92524752
	s_mul_i32 s61, s60, s61                                    // 000000008CB8: 923D3D3C
	s_add_u32 s82, s82, s61                                    // 000000008CBC: 80523D52
	v_mul_lo_u32 v7, v4, s82                                   // 000000008CC0: D2850007 0000A504
	v_add_u32_e32 v57, v6, v7                                  // 000000008CC8: 68720F06
	v_and_b32_e32 v4, 31, v0                                   // 000000008CCC: 2608009F
	v_lshrrev_b32_e32 v4, 1, v4                                // 000000008CD0: 20080881
	s_cmp_eq_u32 s88, 0                                        // 000000008CD4: BF068058
	s_cselect_b32 s61, 2, 4                                    // 000000008CD8: 853D8482
	v_mul_lo_u32 v4, v4, s61                                   // 000000008CDC: D2850004 00007B04
	v_and_b32_e64 v5, v0, 1                                    // 000000008CE4: D1130005 00010300
	v_add_u32_e32 v4, v4, v5                                   // 000000008CEC: 68080B04
	v_lshlrev_b32_e32 v4, 2, v4                                // 000000008CF0: 24080882
	v_add_u32_e32 v48, v48, v4                                 // 000000008CF4: 68600930
	v_add_u32_e32 v49, v49, v4                                 // 000000008CF8: 68620931
	v_add_u32_e32 v50, v50, v4                                 // 000000008CFC: 68640932
	v_add_u32_e32 v51, v51, v4                                 // 000000008D00: 68660933
	v_add_u32_e32 v52, v52, v4                                 // 000000008D04: 68680934
	v_add_u32_e32 v53, v53, v4                                 // 000000008D08: 686A0935
	v_add_u32_e32 v54, v54, v4                                 // 000000008D0C: 686C0936
	v_add_u32_e32 v55, v55, v4                                 // 000000008D10: 686E0937
	v_add_u32_e32 v56, v56, v4                                 // 000000008D14: 68700938
	v_add_u32_e32 v57, v57, v4                                 // 000000008D18: 68720939
	s_waitcnt lgkmcnt(0)                                       // 000000008D1C: BF8CC07F
	s_barrier                                                  // 000000008D20: BF8A0000
	ds_read_b32 v60, v21                                       // 000000008D24: D86C0000 3C000015
	ds_read_b32 v61, v21 offset:64                             // 000000008D2C: D86C0040 3D000015
	ds_read_b32 v62, v21 offset:2176                           // 000000008D34: D86C0880 3E000015
	ds_read_b32 v63, v21 offset:2240                           // 000000008D3C: D86C08C0 3F000015
	ds_read_b32 v64, v21 offset:4352                           // 000000008D44: D86C1100 40000015
	ds_read_b32 v65, v21 offset:4416                           // 000000008D4C: D86C1140 41000015
	ds_read_b32 v66, v21 offset:6528                           // 000000008D54: D86C1980 42000015
	ds_read_b32 v67, v21 offset:6592                           // 000000008D5C: D86C19C0 43000015
	ds_read_b32 v68, v21 offset:8704                           // 000000008D64: D86C2200 44000015
	ds_read_b32 v69, v21 offset:8768                           // 000000008D6C: D86C2240 45000015
	ds_read_b32 v70, v21 offset:10880                          // 000000008D74: D86C2A80 46000015
	ds_read_b32 v71, v21 offset:10944                          // 000000008D7C: D86C2AC0 47000015
	ds_read_b32 v72, v21 offset:13056                          // 000000008D84: D86C3300 48000015
	ds_read_b32 v73, v21 offset:13120                          // 000000008D8C: D86C3340 49000015
	ds_read_b32 v74, v21 offset:15232                          // 000000008D94: D86C3B80 4A000015
	ds_read_b32 v75, v21 offset:15296                          // 000000008D9C: D86C3BC0 4B000015
	ds_read_b32 v76, v21 offset:17408                          // 000000008DA4: D86C4400 4C000015
	ds_read_b32 v77, v21 offset:17472                          // 000000008DAC: D86C4440 4D000015
	ds_read_b32 v78, v21 offset:19584                          // 000000008DB4: D86C4C80 4E000015
	ds_read_b32 v79, v21 offset:19648                          // 000000008DBC: D86C4CC0 4F000015
	s_waitcnt lgkmcnt(0)                                       // 000000008DC4: BF8CC07F
	s_mov_b32 s36, -1                                          // 000000008DC8: BEA400C1
	s_mov_b32 s37, -1                                          // 000000008DCC: BEA500C1
	v_mov_b32_e32 v7, 0                                        // 000000008DD0: 7E0E0280
	s_or_b32 s9, s9, 0x40000                                   // 000000008DD4: 8709FF09 00040000
	s_mov_b64 exec, s[36:37]                                   // 000000008DDC: BEFE0124
	v_mov_b32_e32 v6, v48                                      // 000000008DE0: 7E0C0330
	s_mov_b64 s[60:61], 0                                      // 000000008DE4: BEBC0180
	v_readlane_b32 s82, v3, 0                                  // 000000008DE8: D2890052 00010103
	s_and_b32 s82, s82, 0xffffff                               // 000000008DF0: 8652FF52 00FFFFFF
	s_cmp_lt_u32 s82, s66                                      // 000000008DF8: BF0A4252
	s_cselect_b32 s20, s36, s60                                // 000000008DFC: 85143C24
	v_readlane_b32 s82, v3, 1                                  // 000000008E00: D2890052 00010303
	s_and_b32 s82, s82, 0xffffff                               // 000000008E08: 8652FF52 00FFFFFF
	s_cmp_lt_u32 s82, s66                                      // 000000008E10: BF0A4252
	s_cselect_b32 s21, s36, s60                                // 000000008E14: 85153C24
	s_mov_b64 exec, s[20:21]                                   // 000000008E18: BEFE0114
	buffer_store_dword v60, v6, s[8:11], 0 offen               // 000000008E1C: E0701000 80023C06
	buffer_store_dword v62, v6, s[8:11], 0 offen offset:128    // 000000008E24: E0701080 80023E06
	s_mov_b64 exec, s[36:37]                                   // 000000008E2C: BEFE0124
	v_mov_b32_e32 v6, v49                                      // 000000008E30: 7E0C0331
	s_mov_b64 s[60:61], 0                                      // 000000008E34: BEBC0180
	v_readlane_b32 s82, v3, 2                                  // 000000008E38: D2890052 00010503
	s_and_b32 s82, s82, 0xffffff                               // 000000008E40: 8652FF52 00FFFFFF
	s_cmp_lt_u32 s82, s66                                      // 000000008E48: BF0A4252
	s_cselect_b32 s20, s36, s60                                // 000000008E4C: 85143C24
	v_readlane_b32 s82, v3, 3                                  // 000000008E50: D2890052 00010703
	s_and_b32 s82, s82, 0xffffff                               // 000000008E58: 8652FF52 00FFFFFF
	s_cmp_lt_u32 s82, s66                                      // 000000008E60: BF0A4252
	s_cselect_b32 s21, s36, s60                                // 000000008E64: 85153C24
	s_mov_b64 exec, s[20:21]                                   // 000000008E68: BEFE0114
	buffer_store_dword v61, v6, s[8:11], 0 offen               // 000000008E6C: E0701000 80023D06
	buffer_store_dword v63, v6, s[8:11], 0 offen offset:128    // 000000008E74: E0701080 80023F06
	s_mov_b64 exec, s[36:37]                                   // 000000008E7C: BEFE0124
	v_mov_b32_e32 v6, v50                                      // 000000008E80: 7E0C0332
	s_mov_b64 s[60:61], 0                                      // 000000008E84: BEBC0180
	v_readlane_b32 s82, v3, 4                                  // 000000008E88: D2890052 00010903
	s_and_b32 s82, s82, 0xffffff                               // 000000008E90: 8652FF52 00FFFFFF
	s_cmp_lt_u32 s82, s66                                      // 000000008E98: BF0A4252
	s_cselect_b32 s20, s36, s60                                // 000000008E9C: 85143C24
	v_readlane_b32 s82, v3, 5                                  // 000000008EA0: D2890052 00010B03
	s_and_b32 s82, s82, 0xffffff                               // 000000008EA8: 8652FF52 00FFFFFF
	s_cmp_lt_u32 s82, s66                                      // 000000008EB0: BF0A4252
	s_cselect_b32 s21, s36, s60                                // 000000008EB4: 85153C24
	s_mov_b64 exec, s[20:21]                                   // 000000008EB8: BEFE0114
	buffer_store_dword v64, v6, s[8:11], 0 offen               // 000000008EBC: E0701000 80024006
	buffer_store_dword v66, v6, s[8:11], 0 offen offset:128    // 000000008EC4: E0701080 80024206
	s_mov_b64 exec, s[36:37]                                   // 000000008ECC: BEFE0124
	v_mov_b32_e32 v6, v51                                      // 000000008ED0: 7E0C0333
	s_mov_b64 s[60:61], 0                                      // 000000008ED4: BEBC0180
	v_readlane_b32 s82, v3, 6                                  // 000000008ED8: D2890052 00010D03
	s_and_b32 s82, s82, 0xffffff                               // 000000008EE0: 8652FF52 00FFFFFF
	s_cmp_lt_u32 s82, s66                                      // 000000008EE8: BF0A4252
	s_cselect_b32 s20, s36, s60                                // 000000008EEC: 85143C24
	v_readlane_b32 s82, v3, 7                                  // 000000008EF0: D2890052 00010F03
	s_and_b32 s82, s82, 0xffffff                               // 000000008EF8: 8652FF52 00FFFFFF
	s_cmp_lt_u32 s82, s66                                      // 000000008F00: BF0A4252
	s_cselect_b32 s21, s36, s60                                // 000000008F04: 85153C24
	s_mov_b64 exec, s[20:21]                                   // 000000008F08: BEFE0114
	buffer_store_dword v65, v6, s[8:11], 0 offen               // 000000008F0C: E0701000 80024106
	buffer_store_dword v67, v6, s[8:11], 0 offen offset:128    // 000000008F14: E0701080 80024306
	s_mov_b64 exec, s[36:37]                                   // 000000008F1C: BEFE0124
	v_mov_b32_e32 v6, v52                                      // 000000008F20: 7E0C0334
	s_mov_b64 s[60:61], 0                                      // 000000008F24: BEBC0180
	v_readlane_b32 s82, v3, 8                                  // 000000008F28: D2890052 00011103
	s_and_b32 s82, s82, 0xffffff                               // 000000008F30: 8652FF52 00FFFFFF
	s_cmp_lt_u32 s82, s66                                      // 000000008F38: BF0A4252
	s_cselect_b32 s20, s36, s60                                // 000000008F3C: 85143C24
	v_readlane_b32 s82, v3, 9                                  // 000000008F40: D2890052 00011303
	s_and_b32 s82, s82, 0xffffff                               // 000000008F48: 8652FF52 00FFFFFF
	s_cmp_lt_u32 s82, s66                                      // 000000008F50: BF0A4252
	s_cselect_b32 s21, s36, s60                                // 000000008F54: 85153C24
	s_mov_b64 exec, s[20:21]                                   // 000000008F58: BEFE0114
	buffer_store_dword v68, v6, s[8:11], 0 offen               // 000000008F5C: E0701000 80024406
	buffer_store_dword v70, v6, s[8:11], 0 offen offset:128    // 000000008F64: E0701080 80024606
	s_mov_b64 exec, s[36:37]                                   // 000000008F6C: BEFE0124
	v_mov_b32_e32 v6, v53                                      // 000000008F70: 7E0C0335
	s_mov_b64 s[60:61], 0                                      // 000000008F74: BEBC0180
	v_readlane_b32 s82, v3, 10                                 // 000000008F78: D2890052 00011503
	s_and_b32 s82, s82, 0xffffff                               // 000000008F80: 8652FF52 00FFFFFF
	s_cmp_lt_u32 s82, s66                                      // 000000008F88: BF0A4252
	s_cselect_b32 s20, s36, s60                                // 000000008F8C: 85143C24
	v_readlane_b32 s82, v3, 11                                 // 000000008F90: D2890052 00011703
	s_and_b32 s82, s82, 0xffffff                               // 000000008F98: 8652FF52 00FFFFFF
	s_cmp_lt_u32 s82, s66                                      // 000000008FA0: BF0A4252
	s_cselect_b32 s21, s36, s60                                // 000000008FA4: 85153C24
	s_mov_b64 exec, s[20:21]                                   // 000000008FA8: BEFE0114
	buffer_store_dword v69, v6, s[8:11], 0 offen               // 000000008FAC: E0701000 80024506
	buffer_store_dword v71, v6, s[8:11], 0 offen offset:128    // 000000008FB4: E0701080 80024706
	s_mov_b64 exec, s[36:37]                                   // 000000008FBC: BEFE0124
	v_mov_b32_e32 v6, v54                                      // 000000008FC0: 7E0C0336
	s_mov_b64 s[60:61], 0                                      // 000000008FC4: BEBC0180
	v_readlane_b32 s82, v3, 12                                 // 000000008FC8: D2890052 00011903
	s_and_b32 s82, s82, 0xffffff                               // 000000008FD0: 8652FF52 00FFFFFF
	s_cmp_lt_u32 s82, s66                                      // 000000008FD8: BF0A4252
	s_cselect_b32 s20, s36, s60                                // 000000008FDC: 85143C24
	v_readlane_b32 s82, v3, 13                                 // 000000008FE0: D2890052 00011B03
	s_and_b32 s82, s82, 0xffffff                               // 000000008FE8: 8652FF52 00FFFFFF
	s_cmp_lt_u32 s82, s66                                      // 000000008FF0: BF0A4252
	s_cselect_b32 s21, s36, s60                                // 000000008FF4: 85153C24
	s_mov_b64 exec, s[20:21]                                   // 000000008FF8: BEFE0114
	buffer_store_dword v72, v6, s[8:11], 0 offen               // 000000008FFC: E0701000 80024806
	buffer_store_dword v74, v6, s[8:11], 0 offen offset:128    // 000000009004: E0701080 80024A06
	s_mov_b64 exec, s[36:37]                                   // 00000000900C: BEFE0124
	v_mov_b32_e32 v6, v55                                      // 000000009010: 7E0C0337
	s_mov_b64 s[60:61], 0                                      // 000000009014: BEBC0180
	v_readlane_b32 s82, v3, 14                                 // 000000009018: D2890052 00011D03
	s_and_b32 s82, s82, 0xffffff                               // 000000009020: 8652FF52 00FFFFFF
	s_cmp_lt_u32 s82, s66                                      // 000000009028: BF0A4252
	s_cselect_b32 s20, s36, s60                                // 00000000902C: 85143C24
	v_readlane_b32 s82, v3, 15                                 // 000000009030: D2890052 00011F03
	s_and_b32 s82, s82, 0xffffff                               // 000000009038: 8652FF52 00FFFFFF
	s_cmp_lt_u32 s82, s66                                      // 000000009040: BF0A4252
	s_cselect_b32 s21, s36, s60                                // 000000009044: 85153C24
	s_mov_b64 exec, s[20:21]                                   // 000000009048: BEFE0114
	buffer_store_dword v73, v6, s[8:11], 0 offen               // 00000000904C: E0701000 80024906
	buffer_store_dword v75, v6, s[8:11], 0 offen offset:128    // 000000009054: E0701080 80024B06
	s_mov_b64 exec, s[36:37]                                   // 00000000905C: BEFE0124
	v_mov_b32_e32 v6, v56                                      // 000000009060: 7E0C0338
	s_mov_b64 s[60:61], 0                                      // 000000009064: BEBC0180
	v_readlane_b32 s82, v3, 16                                 // 000000009068: D2890052 00012103
	s_and_b32 s82, s82, 0xffffff                               // 000000009070: 8652FF52 00FFFFFF
	s_cmp_lt_u32 s82, s66                                      // 000000009078: BF0A4252
	s_cselect_b32 s20, s36, s60                                // 00000000907C: 85143C24
	v_readlane_b32 s82, v3, 17                                 // 000000009080: D2890052 00012303
	s_and_b32 s82, s82, 0xffffff                               // 000000009088: 8652FF52 00FFFFFF
	s_cmp_lt_u32 s82, s66                                      // 000000009090: BF0A4252
	s_cselect_b32 s21, s36, s60                                // 000000009094: 85153C24
	s_mov_b64 exec, s[20:21]                                   // 000000009098: BEFE0114
	buffer_store_dword v76, v6, s[8:11], 0 offen               // 00000000909C: E0701000 80024C06
	buffer_store_dword v78, v6, s[8:11], 0 offen offset:128    // 0000000090A4: E0701080 80024E06
	s_mov_b64 exec, s[36:37]                                   // 0000000090AC: BEFE0124
	v_mov_b32_e32 v6, v57                                      // 0000000090B0: 7E0C0339
	s_mov_b64 s[60:61], 0                                      // 0000000090B4: BEBC0180
	v_readlane_b32 s82, v3, 18                                 // 0000000090B8: D2890052 00012503
	s_and_b32 s82, s82, 0xffffff                               // 0000000090C0: 8652FF52 00FFFFFF
	s_cmp_lt_u32 s82, s66                                      // 0000000090C8: BF0A4252
	s_cselect_b32 s20, s36, s60                                // 0000000090CC: 85143C24
	v_readlane_b32 s82, v3, 19                                 // 0000000090D0: D2890052 00012703
	s_and_b32 s82, s82, 0xffffff                               // 0000000090D8: 8652FF52 00FFFFFF
	s_cmp_lt_u32 s82, s66                                      // 0000000090E0: BF0A4252
	s_cselect_b32 s21, s36, s60                                // 0000000090E4: 85153C24
	s_mov_b64 exec, s[20:21]                                   // 0000000090E8: BEFE0114
	buffer_store_dword v77, v6, s[8:11], 0 offen               // 0000000090EC: E0701000 80024D06
	buffer_store_dword v79, v6, s[8:11], 0 offen offset:128    // 0000000090F4: E0701080 80024F06
	s_mov_b64 exec, s[36:37]                                   // 0000000090FC: BEFE0124
	s_branch label_1EDA                                        // 000000009100: BF820516

0000000000009104 <label_19C4>:
	ds_write_b64 v20, v[60:61]                                 // 000000009104: D89A0000 00003C14
	ds_write_b64 v20, v[64:65] offset:4352                     // 00000000910C: D89A1100 00004014
	ds_write_b64 v20, v[68:69] offset:8704                     // 000000009114: D89A2200 00004414
	ds_write_b64 v20, v[72:73] offset:13056                    // 00000000911C: D89A3300 00004814
	ds_write_b64 v20, v[76:77] offset:17408                    // 000000009124: D89A4400 00004C14
	ds_write_b64 v20, v[80:81] offset:2176                     // 00000000912C: D89A0880 00005014
	ds_write_b64 v20, v[84:85] offset:6528                     // 000000009134: D89A1980 00005414
	ds_write_b64 v20, v[88:89] offset:10880                    // 00000000913C: D89A2A80 00005814
	ds_write_b64 v20, v[92:93] offset:15232                    // 000000009144: D89A3B80 00005C14
	ds_write_b64 v20, v[96:97] offset:19584                    // 00000000914C: D89A4C80 00006014
	v_lshrrev_b32_e32 v4, 5, v0                                // 000000009154: 20080085
	v_xor_b32_e32 v5, 1, v4                                    // 000000009158: 2A0A0881
	s_mul_i32 s60, s65, 2                                      // 00000000915C: 923C8241
	s_cmp_eq_u32 s88, 0                                        // 000000009160: BF068058
	s_cselect_b32 s61, 1, 4                                    // 000000009164: 853D8481
	s_mul_i32 s60, s61, s60                                    // 000000009168: 923C3C3D
	v_readlane_b32 s82, v3, 0                                  // 00000000916C: D2890052 00010103
	s_lshr_b32 s61, s82, 24                                    // 000000009174: 8F3D9852
	s_and_b32 s82, s82, 0xffffff                               // 000000009178: 8652FF52 00FFFFFF
	s_mul_i32 s82, s82, s71                                    // 000000009180: 92524752
	s_mul_i32 s61, s60, s61                                    // 000000009184: 923D3D3C
	s_add_u32 s82, s82, s61                                    // 000000009188: 80523D52
	v_mul_lo_u32 v6, v5, s82                                   // 00000000918C: D2850006 0000A505
	v_readlane_b32 s82, v3, 1                                  // 000000009194: D2890052 00010303
	s_lshr_b32 s61, s82, 24                                    // 00000000919C: 8F3D9852
	s_and_b32 s82, s82, 0xffffff                               // 0000000091A0: 8652FF52 00FFFFFF
	s_mul_i32 s82, s82, s71                                    // 0000000091A8: 92524752
	s_mul_i32 s61, s60, s61                                    // 0000000091AC: 923D3D3C
	s_add_u32 s82, s82, s61                                    // 0000000091B0: 80523D52
	v_mul_lo_u32 v7, v4, s82                                   // 0000000091B4: D2850007 0000A504
	v_add_u32_e32 v48, v6, v7                                  // 0000000091BC: 68600F06
	v_readlane_b32 s82, v3, 2                                  // 0000000091C0: D2890052 00010503
	s_lshr_b32 s61, s82, 24                                    // 0000000091C8: 8F3D9852
	s_and_b32 s82, s82, 0xffffff                               // 0000000091CC: 8652FF52 00FFFFFF
	s_mul_i32 s82, s82, s71                                    // 0000000091D4: 92524752
	s_mul_i32 s61, s60, s61                                    // 0000000091D8: 923D3D3C
	s_add_u32 s82, s82, s61                                    // 0000000091DC: 80523D52
	v_mul_lo_u32 v6, v5, s82                                   // 0000000091E0: D2850006 0000A505
	v_readlane_b32 s82, v3, 3                                  // 0000000091E8: D2890052 00010703
	s_lshr_b32 s61, s82, 24                                    // 0000000091F0: 8F3D9852
	s_and_b32 s82, s82, 0xffffff                               // 0000000091F4: 8652FF52 00FFFFFF
	s_mul_i32 s82, s82, s71                                    // 0000000091FC: 92524752
	s_mul_i32 s61, s60, s61                                    // 000000009200: 923D3D3C
	s_add_u32 s82, s82, s61                                    // 000000009204: 80523D52
	v_mul_lo_u32 v7, v4, s82                                   // 000000009208: D2850007 0000A504
	v_add_u32_e32 v49, v6, v7                                  // 000000009210: 68620F06
	v_readlane_b32 s82, v3, 4                                  // 000000009214: D2890052 00010903
	s_lshr_b32 s61, s82, 24                                    // 00000000921C: 8F3D9852
	s_and_b32 s82, s82, 0xffffff                               // 000000009220: 8652FF52 00FFFFFF
	s_mul_i32 s82, s82, s71                                    // 000000009228: 92524752
	s_mul_i32 s61, s60, s61                                    // 00000000922C: 923D3D3C
	s_add_u32 s82, s82, s61                                    // 000000009230: 80523D52
	v_mul_lo_u32 v6, v5, s82                                   // 000000009234: D2850006 0000A505
	v_readlane_b32 s82, v3, 5                                  // 00000000923C: D2890052 00010B03
	s_lshr_b32 s61, s82, 24                                    // 000000009244: 8F3D9852
	s_and_b32 s82, s82, 0xffffff                               // 000000009248: 8652FF52 00FFFFFF
	s_mul_i32 s82, s82, s71                                    // 000000009250: 92524752
	s_mul_i32 s61, s60, s61                                    // 000000009254: 923D3D3C
	s_add_u32 s82, s82, s61                                    // 000000009258: 80523D52
	v_mul_lo_u32 v7, v4, s82                                   // 00000000925C: D2850007 0000A504
	v_add_u32_e32 v50, v6, v7                                  // 000000009264: 68640F06
	v_readlane_b32 s82, v3, 6                                  // 000000009268: D2890052 00010D03
	s_lshr_b32 s61, s82, 24                                    // 000000009270: 8F3D9852
	s_and_b32 s82, s82, 0xffffff                               // 000000009274: 8652FF52 00FFFFFF
	s_mul_i32 s82, s82, s71                                    // 00000000927C: 92524752
	s_mul_i32 s61, s60, s61                                    // 000000009280: 923D3D3C
	s_add_u32 s82, s82, s61                                    // 000000009284: 80523D52
	v_mul_lo_u32 v6, v5, s82                                   // 000000009288: D2850006 0000A505
	v_readlane_b32 s82, v3, 7                                  // 000000009290: D2890052 00010F03
	s_lshr_b32 s61, s82, 24                                    // 000000009298: 8F3D9852
	s_and_b32 s82, s82, 0xffffff                               // 00000000929C: 8652FF52 00FFFFFF
	s_mul_i32 s82, s82, s71                                    // 0000000092A4: 92524752
	s_mul_i32 s61, s60, s61                                    // 0000000092A8: 923D3D3C
	s_add_u32 s82, s82, s61                                    // 0000000092AC: 80523D52
	v_mul_lo_u32 v7, v4, s82                                   // 0000000092B0: D2850007 0000A504
	v_add_u32_e32 v51, v6, v7                                  // 0000000092B8: 68660F06
	v_readlane_b32 s82, v3, 8                                  // 0000000092BC: D2890052 00011103
	s_lshr_b32 s61, s82, 24                                    // 0000000092C4: 8F3D9852
	s_and_b32 s82, s82, 0xffffff                               // 0000000092C8: 8652FF52 00FFFFFF
	s_mul_i32 s82, s82, s71                                    // 0000000092D0: 92524752
	s_mul_i32 s61, s60, s61                                    // 0000000092D4: 923D3D3C
	s_add_u32 s82, s82, s61                                    // 0000000092D8: 80523D52
	v_mul_lo_u32 v6, v5, s82                                   // 0000000092DC: D2850006 0000A505
	v_readlane_b32 s82, v3, 9                                  // 0000000092E4: D2890052 00011303
	s_lshr_b32 s61, s82, 24                                    // 0000000092EC: 8F3D9852
	s_and_b32 s82, s82, 0xffffff                               // 0000000092F0: 8652FF52 00FFFFFF
	s_mul_i32 s82, s82, s71                                    // 0000000092F8: 92524752
	s_mul_i32 s61, s60, s61                                    // 0000000092FC: 923D3D3C
	s_add_u32 s82, s82, s61                                    // 000000009300: 80523D52
	v_mul_lo_u32 v7, v4, s82                                   // 000000009304: D2850007 0000A504
	v_add_u32_e32 v52, v6, v7                                  // 00000000930C: 68680F06
	v_readlane_b32 s82, v3, 10                                 // 000000009310: D2890052 00011503
	s_lshr_b32 s61, s82, 24                                    // 000000009318: 8F3D9852
	s_and_b32 s82, s82, 0xffffff                               // 00000000931C: 8652FF52 00FFFFFF
	s_mul_i32 s82, s82, s71                                    // 000000009324: 92524752
	s_mul_i32 s61, s60, s61                                    // 000000009328: 923D3D3C
	s_add_u32 s82, s82, s61                                    // 00000000932C: 80523D52
	v_mul_lo_u32 v6, v5, s82                                   // 000000009330: D2850006 0000A505
	v_readlane_b32 s82, v3, 11                                 // 000000009338: D2890052 00011703
	s_lshr_b32 s61, s82, 24                                    // 000000009340: 8F3D9852
	s_and_b32 s82, s82, 0xffffff                               // 000000009344: 8652FF52 00FFFFFF
	s_mul_i32 s82, s82, s71                                    // 00000000934C: 92524752
	s_mul_i32 s61, s60, s61                                    // 000000009350: 923D3D3C
	s_add_u32 s82, s82, s61                                    // 000000009354: 80523D52
	v_mul_lo_u32 v7, v4, s82                                   // 000000009358: D2850007 0000A504
	v_add_u32_e32 v53, v6, v7                                  // 000000009360: 686A0F06
	v_readlane_b32 s82, v3, 12                                 // 000000009364: D2890052 00011903
	s_lshr_b32 s61, s82, 24                                    // 00000000936C: 8F3D9852
	s_and_b32 s82, s82, 0xffffff                               // 000000009370: 8652FF52 00FFFFFF
	s_mul_i32 s82, s82, s71                                    // 000000009378: 92524752
	s_mul_i32 s61, s60, s61                                    // 00000000937C: 923D3D3C
	s_add_u32 s82, s82, s61                                    // 000000009380: 80523D52
	v_mul_lo_u32 v6, v5, s82                                   // 000000009384: D2850006 0000A505
	v_readlane_b32 s82, v3, 13                                 // 00000000938C: D2890052 00011B03
	s_lshr_b32 s61, s82, 24                                    // 000000009394: 8F3D9852
	s_and_b32 s82, s82, 0xffffff                               // 000000009398: 8652FF52 00FFFFFF
	s_mul_i32 s82, s82, s71                                    // 0000000093A0: 92524752
	s_mul_i32 s61, s60, s61                                    // 0000000093A4: 923D3D3C
	s_add_u32 s82, s82, s61                                    // 0000000093A8: 80523D52
	v_mul_lo_u32 v7, v4, s82                                   // 0000000093AC: D2850007 0000A504
	v_add_u32_e32 v54, v6, v7                                  // 0000000093B4: 686C0F06
	v_readlane_b32 s82, v3, 14                                 // 0000000093B8: D2890052 00011D03
	s_lshr_b32 s61, s82, 24                                    // 0000000093C0: 8F3D9852
	s_and_b32 s82, s82, 0xffffff                               // 0000000093C4: 8652FF52 00FFFFFF
	s_mul_i32 s82, s82, s71                                    // 0000000093CC: 92524752
	s_mul_i32 s61, s60, s61                                    // 0000000093D0: 923D3D3C
	s_add_u32 s82, s82, s61                                    // 0000000093D4: 80523D52
	v_mul_lo_u32 v6, v5, s82                                   // 0000000093D8: D2850006 0000A505
	v_readlane_b32 s82, v3, 15                                 // 0000000093E0: D2890052 00011F03
	s_lshr_b32 s61, s82, 24                                    // 0000000093E8: 8F3D9852
	s_and_b32 s82, s82, 0xffffff                               // 0000000093EC: 8652FF52 00FFFFFF
	s_mul_i32 s82, s82, s71                                    // 0000000093F4: 92524752
	s_mul_i32 s61, s60, s61                                    // 0000000093F8: 923D3D3C
	s_add_u32 s82, s82, s61                                    // 0000000093FC: 80523D52
	v_mul_lo_u32 v7, v4, s82                                   // 000000009400: D2850007 0000A504
	v_add_u32_e32 v55, v6, v7                                  // 000000009408: 686E0F06
	v_readlane_b32 s82, v3, 16                                 // 00000000940C: D2890052 00012103
	s_lshr_b32 s61, s82, 24                                    // 000000009414: 8F3D9852
	s_and_b32 s82, s82, 0xffffff                               // 000000009418: 8652FF52 00FFFFFF
	s_mul_i32 s82, s82, s71                                    // 000000009420: 92524752
	s_mul_i32 s61, s60, s61                                    // 000000009424: 923D3D3C
	s_add_u32 s82, s82, s61                                    // 000000009428: 80523D52
	v_mul_lo_u32 v6, v5, s82                                   // 00000000942C: D2850006 0000A505
	v_readlane_b32 s82, v3, 17                                 // 000000009434: D2890052 00012303
	s_lshr_b32 s61, s82, 24                                    // 00000000943C: 8F3D9852
	s_and_b32 s82, s82, 0xffffff                               // 000000009440: 8652FF52 00FFFFFF
	s_mul_i32 s82, s82, s71                                    // 000000009448: 92524752
	s_mul_i32 s61, s60, s61                                    // 00000000944C: 923D3D3C
	s_add_u32 s82, s82, s61                                    // 000000009450: 80523D52
	v_mul_lo_u32 v7, v4, s82                                   // 000000009454: D2850007 0000A504
	v_add_u32_e32 v56, v6, v7                                  // 00000000945C: 68700F06
	v_readlane_b32 s82, v3, 18                                 // 000000009460: D2890052 00012503
	s_lshr_b32 s61, s82, 24                                    // 000000009468: 8F3D9852
	s_and_b32 s82, s82, 0xffffff                               // 00000000946C: 8652FF52 00FFFFFF
	s_mul_i32 s82, s82, s71                                    // 000000009474: 92524752
	s_mul_i32 s61, s60, s61                                    // 000000009478: 923D3D3C
	s_add_u32 s82, s82, s61                                    // 00000000947C: 80523D52
	v_mul_lo_u32 v6, v5, s82                                   // 000000009480: D2850006 0000A505
	v_readlane_b32 s82, v3, 19                                 // 000000009488: D2890052 00012703
	s_lshr_b32 s61, s82, 24                                    // 000000009490: 8F3D9852
	s_and_b32 s82, s82, 0xffffff                               // 000000009494: 8652FF52 00FFFFFF
	s_mul_i32 s82, s82, s71                                    // 00000000949C: 92524752
	s_mul_i32 s61, s60, s61                                    // 0000000094A0: 923D3D3C
	s_add_u32 s82, s82, s61                                    // 0000000094A4: 80523D52
	v_mul_lo_u32 v7, v4, s82                                   // 0000000094A8: D2850007 0000A504
	v_add_u32_e32 v57, v6, v7                                  // 0000000094B0: 68720F06
	v_and_b32_e32 v4, 31, v0                                   // 0000000094B4: 2608009F
	v_lshrrev_b32_e32 v4, 1, v4                                // 0000000094B8: 20080881
	s_cmp_eq_u32 s88, 0                                        // 0000000094BC: BF068058
	s_cselect_b32 s61, 2, 4                                    // 0000000094C0: 853D8482
	v_mul_lo_u32 v4, v4, s61                                   // 0000000094C4: D2850004 00007B04
	v_and_b32_e64 v5, v0, 1                                    // 0000000094CC: D1130005 00010300
	v_add_u32_e32 v4, v4, v5                                   // 0000000094D4: 68080B04
	v_lshlrev_b32_e32 v4, 2, v4                                // 0000000094D8: 24080882
	v_add_u32_e32 v48, v48, v4                                 // 0000000094DC: 68600930
	v_add_u32_e32 v49, v49, v4                                 // 0000000094E0: 68620931
	v_add_u32_e32 v50, v50, v4                                 // 0000000094E4: 68640932
	v_add_u32_e32 v51, v51, v4                                 // 0000000094E8: 68660933
	v_add_u32_e32 v52, v52, v4                                 // 0000000094EC: 68680934
	v_add_u32_e32 v53, v53, v4                                 // 0000000094F0: 686A0935
	v_add_u32_e32 v54, v54, v4                                 // 0000000094F4: 686C0936
	v_add_u32_e32 v55, v55, v4                                 // 0000000094F8: 686E0937
	v_add_u32_e32 v56, v56, v4                                 // 0000000094FC: 68700938
	v_add_u32_e32 v57, v57, v4                                 // 000000009500: 68720939
	s_waitcnt lgkmcnt(0)                                       // 000000009504: BF8CC07F
	s_barrier                                                  // 000000009508: BF8A0000
	ds_read_b32 v60, v21                                       // 00000000950C: D86C0000 3C000015
	ds_read_b32 v61, v21 offset:64                             // 000000009514: D86C0040 3D000015
	ds_read_b32 v64, v21 offset:2176                           // 00000000951C: D86C0880 40000015
	ds_read_b32 v65, v21 offset:2240                           // 000000009524: D86C08C0 41000015
	ds_read_b32 v68, v21 offset:4352                           // 00000000952C: D86C1100 44000015
	ds_read_b32 v69, v21 offset:4416                           // 000000009534: D86C1140 45000015
	ds_read_b32 v72, v21 offset:6528                           // 00000000953C: D86C1980 48000015
	ds_read_b32 v73, v21 offset:6592                           // 000000009544: D86C19C0 49000015
	ds_read_b32 v76, v21 offset:8704                           // 00000000954C: D86C2200 4C000015
	ds_read_b32 v77, v21 offset:8768                           // 000000009554: D86C2240 4D000015
	ds_read_b32 v80, v21 offset:10880                          // 00000000955C: D86C2A80 50000015
	ds_read_b32 v81, v21 offset:10944                          // 000000009564: D86C2AC0 51000015
	ds_read_b32 v84, v21 offset:13056                          // 00000000956C: D86C3300 54000015
	ds_read_b32 v85, v21 offset:13120                          // 000000009574: D86C3340 55000015
	ds_read_b32 v88, v21 offset:15232                          // 00000000957C: D86C3B80 58000015
	ds_read_b32 v89, v21 offset:15296                          // 000000009584: D86C3BC0 59000015
	ds_read_b32 v92, v21 offset:17408                          // 00000000958C: D86C4400 5C000015
	ds_read_b32 v93, v21 offset:17472                          // 000000009594: D86C4440 5D000015
	ds_read_b32 v96, v21 offset:19584                          // 00000000959C: D86C4C80 60000015
	ds_read_b32 v97, v21 offset:19648                          // 0000000095A4: D86C4CC0 61000015
	s_waitcnt lgkmcnt(0)                                       // 0000000095AC: BF8CC07F
	s_mov_b32 s36, -1                                          // 0000000095B0: BEA400C1
	s_mov_b32 s37, -1                                          // 0000000095B4: BEA500C1
	v_mov_b32_e32 v7, 0                                        // 0000000095B8: 7E0E0280
	s_mov_b64 exec, s[36:37]                                   // 0000000095BC: BEFE0124
	v_mov_b32_e32 v6, v48                                      // 0000000095C0: 7E0C0330
	s_mov_b64 s[60:61], 0                                      // 0000000095C4: BEBC0180
	v_readlane_b32 s82, v3, 0                                  // 0000000095C8: D2890052 00010103
	s_and_b32 s82, s82, 0xffffff                               // 0000000095D0: 8652FF52 00FFFFFF
	s_cmp_lt_u32 s82, s66                                      // 0000000095D8: BF0A4252
	s_cselect_b32 s20, s36, s60                                // 0000000095DC: 85143C24
	v_readlane_b32 s82, v3, 1                                  // 0000000095E0: D2890052 00010303
	s_and_b32 s82, s82, 0xffffff                               // 0000000095E8: 8652FF52 00FFFFFF
	s_cmp_lt_u32 s82, s66                                      // 0000000095F0: BF0A4252
	s_cselect_b32 s21, s36, s60                                // 0000000095F4: 85153C24
	s_mov_b64 exec, s[20:21]                                   // 0000000095F8: BEFE0114
	global_atomic_add_f32 v6, v60, s[8:9]                      // 0000000095FC: DD348000 00083C06
	global_atomic_add_f32 v6, v64, s[8:9] offset:256           // 000000009604: DD348100 00084006
	s_mov_b64 exec, s[36:37]                                   // 00000000960C: BEFE0124
	v_mov_b32_e32 v6, v49                                      // 000000009610: 7E0C0331
	s_mov_b64 s[60:61], 0                                      // 000000009614: BEBC0180
	v_readlane_b32 s82, v3, 2                                  // 000000009618: D2890052 00010503
	s_and_b32 s82, s82, 0xffffff                               // 000000009620: 8652FF52 00FFFFFF
	s_cmp_lt_u32 s82, s66                                      // 000000009628: BF0A4252
	s_cselect_b32 s20, s36, s60                                // 00000000962C: 85143C24
	v_readlane_b32 s82, v3, 3                                  // 000000009630: D2890052 00010703
	s_and_b32 s82, s82, 0xffffff                               // 000000009638: 8652FF52 00FFFFFF
	s_cmp_lt_u32 s82, s66                                      // 000000009640: BF0A4252
	s_cselect_b32 s21, s36, s60                                // 000000009644: 85153C24
	s_mov_b64 exec, s[20:21]                                   // 000000009648: BEFE0114
	global_atomic_add_f32 v6, v61, s[8:9]                      // 00000000964C: DD348000 00083D06
	global_atomic_add_f32 v6, v65, s[8:9] offset:256           // 000000009654: DD348100 00084106
	s_mov_b64 exec, s[36:37]                                   // 00000000965C: BEFE0124
	v_mov_b32_e32 v6, v50                                      // 000000009660: 7E0C0332
	s_mov_b64 s[60:61], 0                                      // 000000009664: BEBC0180
	v_readlane_b32 s82, v3, 4                                  // 000000009668: D2890052 00010903
	s_and_b32 s82, s82, 0xffffff                               // 000000009670: 8652FF52 00FFFFFF
	s_cmp_lt_u32 s82, s66                                      // 000000009678: BF0A4252
	s_cselect_b32 s20, s36, s60                                // 00000000967C: 85143C24
	v_readlane_b32 s82, v3, 5                                  // 000000009680: D2890052 00010B03
	s_and_b32 s82, s82, 0xffffff                               // 000000009688: 8652FF52 00FFFFFF
	s_cmp_lt_u32 s82, s66                                      // 000000009690: BF0A4252
	s_cselect_b32 s21, s36, s60                                // 000000009694: 85153C24
	s_mov_b64 exec, s[20:21]                                   // 000000009698: BEFE0114
	global_atomic_add_f32 v6, v68, s[8:9]                      // 00000000969C: DD348000 00084406
	global_atomic_add_f32 v6, v72, s[8:9] offset:256           // 0000000096A4: DD348100 00084806
	s_mov_b64 exec, s[36:37]                                   // 0000000096AC: BEFE0124
	v_mov_b32_e32 v6, v51                                      // 0000000096B0: 7E0C0333
	s_mov_b64 s[60:61], 0                                      // 0000000096B4: BEBC0180
	v_readlane_b32 s82, v3, 6                                  // 0000000096B8: D2890052 00010D03
	s_and_b32 s82, s82, 0xffffff                               // 0000000096C0: 8652FF52 00FFFFFF
	s_cmp_lt_u32 s82, s66                                      // 0000000096C8: BF0A4252
	s_cselect_b32 s20, s36, s60                                // 0000000096CC: 85143C24
	v_readlane_b32 s82, v3, 7                                  // 0000000096D0: D2890052 00010F03
	s_and_b32 s82, s82, 0xffffff                               // 0000000096D8: 8652FF52 00FFFFFF
	s_cmp_lt_u32 s82, s66                                      // 0000000096E0: BF0A4252
	s_cselect_b32 s21, s36, s60                                // 0000000096E4: 85153C24
	s_mov_b64 exec, s[20:21]                                   // 0000000096E8: BEFE0114
	global_atomic_add_f32 v6, v69, s[8:9]                      // 0000000096EC: DD348000 00084506
	global_atomic_add_f32 v6, v73, s[8:9] offset:256           // 0000000096F4: DD348100 00084906
	s_mov_b64 exec, s[36:37]                                   // 0000000096FC: BEFE0124
	v_mov_b32_e32 v6, v52                                      // 000000009700: 7E0C0334
	s_mov_b64 s[60:61], 0                                      // 000000009704: BEBC0180
	v_readlane_b32 s82, v3, 8                                  // 000000009708: D2890052 00011103
	s_and_b32 s82, s82, 0xffffff                               // 000000009710: 8652FF52 00FFFFFF
	s_cmp_lt_u32 s82, s66                                      // 000000009718: BF0A4252
	s_cselect_b32 s20, s36, s60                                // 00000000971C: 85143C24
	v_readlane_b32 s82, v3, 9                                  // 000000009720: D2890052 00011303
	s_and_b32 s82, s82, 0xffffff                               // 000000009728: 8652FF52 00FFFFFF
	s_cmp_lt_u32 s82, s66                                      // 000000009730: BF0A4252
	s_cselect_b32 s21, s36, s60                                // 000000009734: 85153C24
	s_mov_b64 exec, s[20:21]                                   // 000000009738: BEFE0114
	global_atomic_add_f32 v6, v76, s[8:9]                      // 00000000973C: DD348000 00084C06
	global_atomic_add_f32 v6, v80, s[8:9] offset:256           // 000000009744: DD348100 00085006
	s_mov_b64 exec, s[36:37]                                   // 00000000974C: BEFE0124
	v_mov_b32_e32 v6, v53                                      // 000000009750: 7E0C0335
	s_mov_b64 s[60:61], 0                                      // 000000009754: BEBC0180
	v_readlane_b32 s82, v3, 10                                 // 000000009758: D2890052 00011503
	s_and_b32 s82, s82, 0xffffff                               // 000000009760: 8652FF52 00FFFFFF
	s_cmp_lt_u32 s82, s66                                      // 000000009768: BF0A4252
	s_cselect_b32 s20, s36, s60                                // 00000000976C: 85143C24
	v_readlane_b32 s82, v3, 11                                 // 000000009770: D2890052 00011703
	s_and_b32 s82, s82, 0xffffff                               // 000000009778: 8652FF52 00FFFFFF
	s_cmp_lt_u32 s82, s66                                      // 000000009780: BF0A4252
	s_cselect_b32 s21, s36, s60                                // 000000009784: 85153C24
	s_mov_b64 exec, s[20:21]                                   // 000000009788: BEFE0114
	global_atomic_add_f32 v6, v77, s[8:9]                      // 00000000978C: DD348000 00084D06
	global_atomic_add_f32 v6, v81, s[8:9] offset:256           // 000000009794: DD348100 00085106
	s_mov_b64 exec, s[36:37]                                   // 00000000979C: BEFE0124
	v_mov_b32_e32 v6, v54                                      // 0000000097A0: 7E0C0336
	s_mov_b64 s[60:61], 0                                      // 0000000097A4: BEBC0180
	v_readlane_b32 s82, v3, 12                                 // 0000000097A8: D2890052 00011903
	s_and_b32 s82, s82, 0xffffff                               // 0000000097B0: 8652FF52 00FFFFFF
	s_cmp_lt_u32 s82, s66                                      // 0000000097B8: BF0A4252
	s_cselect_b32 s20, s36, s60                                // 0000000097BC: 85143C24
	v_readlane_b32 s82, v3, 13                                 // 0000000097C0: D2890052 00011B03
	s_and_b32 s82, s82, 0xffffff                               // 0000000097C8: 8652FF52 00FFFFFF
	s_cmp_lt_u32 s82, s66                                      // 0000000097D0: BF0A4252
	s_cselect_b32 s21, s36, s60                                // 0000000097D4: 85153C24
	s_mov_b64 exec, s[20:21]                                   // 0000000097D8: BEFE0114
	global_atomic_add_f32 v6, v84, s[8:9]                      // 0000000097DC: DD348000 00085406
	global_atomic_add_f32 v6, v88, s[8:9] offset:256           // 0000000097E4: DD348100 00085806
	s_mov_b64 exec, s[36:37]                                   // 0000000097EC: BEFE0124
	v_mov_b32_e32 v6, v55                                      // 0000000097F0: 7E0C0337
	s_mov_b64 s[60:61], 0                                      // 0000000097F4: BEBC0180
	v_readlane_b32 s82, v3, 14                                 // 0000000097F8: D2890052 00011D03
	s_and_b32 s82, s82, 0xffffff                               // 000000009800: 8652FF52 00FFFFFF
	s_cmp_lt_u32 s82, s66                                      // 000000009808: BF0A4252
	s_cselect_b32 s20, s36, s60                                // 00000000980C: 85143C24
	v_readlane_b32 s82, v3, 15                                 // 000000009810: D2890052 00011F03
	s_and_b32 s82, s82, 0xffffff                               // 000000009818: 8652FF52 00FFFFFF
	s_cmp_lt_u32 s82, s66                                      // 000000009820: BF0A4252
	s_cselect_b32 s21, s36, s60                                // 000000009824: 85153C24
	s_mov_b64 exec, s[20:21]                                   // 000000009828: BEFE0114
	global_atomic_add_f32 v6, v85, s[8:9]                      // 00000000982C: DD348000 00085506
	global_atomic_add_f32 v6, v89, s[8:9] offset:256           // 000000009834: DD348100 00085906
	s_mov_b64 exec, s[36:37]                                   // 00000000983C: BEFE0124
	v_mov_b32_e32 v6, v56                                      // 000000009840: 7E0C0338
	s_mov_b64 s[60:61], 0                                      // 000000009844: BEBC0180
	v_readlane_b32 s82, v3, 16                                 // 000000009848: D2890052 00012103
	s_and_b32 s82, s82, 0xffffff                               // 000000009850: 8652FF52 00FFFFFF
	s_cmp_lt_u32 s82, s66                                      // 000000009858: BF0A4252
	s_cselect_b32 s20, s36, s60                                // 00000000985C: 85143C24
	v_readlane_b32 s82, v3, 17                                 // 000000009860: D2890052 00012303
	s_and_b32 s82, s82, 0xffffff                               // 000000009868: 8652FF52 00FFFFFF
	s_cmp_lt_u32 s82, s66                                      // 000000009870: BF0A4252
	s_cselect_b32 s21, s36, s60                                // 000000009874: 85153C24
	s_mov_b64 exec, s[20:21]                                   // 000000009878: BEFE0114
	global_atomic_add_f32 v6, v92, s[8:9]                      // 00000000987C: DD348000 00085C06
	global_atomic_add_f32 v6, v96, s[8:9] offset:256           // 000000009884: DD348100 00086006
	s_mov_b64 exec, s[36:37]                                   // 00000000988C: BEFE0124
	v_mov_b32_e32 v6, v57                                      // 000000009890: 7E0C0339
	s_mov_b64 s[60:61], 0                                      // 000000009894: BEBC0180
	v_readlane_b32 s82, v3, 18                                 // 000000009898: D2890052 00012503
	s_and_b32 s82, s82, 0xffffff                               // 0000000098A0: 8652FF52 00FFFFFF
	s_cmp_lt_u32 s82, s66                                      // 0000000098A8: BF0A4252
	s_cselect_b32 s20, s36, s60                                // 0000000098AC: 85143C24
	v_readlane_b32 s82, v3, 19                                 // 0000000098B0: D2890052 00012703
	s_and_b32 s82, s82, 0xffffff                               // 0000000098B8: 8652FF52 00FFFFFF
	s_cmp_lt_u32 s82, s66                                      // 0000000098C0: BF0A4252
	s_cselect_b32 s21, s36, s60                                // 0000000098C4: 85153C24
	s_mov_b64 exec, s[20:21]                                   // 0000000098C8: BEFE0114
	global_atomic_add_f32 v6, v93, s[8:9]                      // 0000000098CC: DD348000 00085D06
	global_atomic_add_f32 v6, v97, s[8:9] offset:256           // 0000000098D4: DD348100 00086106
	s_mov_b64 exec, s[36:37]                                   // 0000000098DC: BEFE0124
	ds_write_b64 v20, v[62:63]                                 // 0000000098E0: D89A0000 00003E14
	ds_write_b64 v20, v[66:67] offset:4352                     // 0000000098E8: D89A1100 00004214
	ds_write_b64 v20, v[70:71] offset:8704                     // 0000000098F0: D89A2200 00004614
	ds_write_b64 v20, v[74:75] offset:13056                    // 0000000098F8: D89A3300 00004A14
	ds_write_b64 v20, v[78:79] offset:17408                    // 000000009900: D89A4400 00004E14
	ds_write_b64 v20, v[82:83] offset:2176                     // 000000009908: D89A0880 00005214
	ds_write_b64 v20, v[86:87] offset:6528                     // 000000009910: D89A1980 00005614
	ds_write_b64 v20, v[90:91] offset:10880                    // 000000009918: D89A2A80 00005A14
	ds_write_b64 v20, v[94:95] offset:15232                    // 000000009920: D89A3B80 00005E14
	ds_write_b64 v20, v[98:99] offset:19584                    // 000000009928: D89A4C80 00006214
	s_waitcnt lgkmcnt(0)                                       // 000000009930: BF8CC07F
	s_barrier                                                  // 000000009934: BF8A0000
	ds_read_b32 v62, v21                                       // 000000009938: D86C0000 3E000015
	ds_read_b32 v63, v21 offset:64                             // 000000009940: D86C0040 3F000015
	ds_read_b32 v66, v21 offset:2176                           // 000000009948: D86C0880 42000015
	ds_read_b32 v67, v21 offset:2240                           // 000000009950: D86C08C0 43000015
	ds_read_b32 v70, v21 offset:4352                           // 000000009958: D86C1100 46000015
	ds_read_b32 v71, v21 offset:4416                           // 000000009960: D86C1140 47000015
	ds_read_b32 v74, v21 offset:6528                           // 000000009968: D86C1980 4A000015
	ds_read_b32 v75, v21 offset:6592                           // 000000009970: D86C19C0 4B000015
	ds_read_b32 v78, v21 offset:8704                           // 000000009978: D86C2200 4E000015
	ds_read_b32 v79, v21 offset:8768                           // 000000009980: D86C2240 4F000015
	ds_read_b32 v82, v21 offset:10880                          // 000000009988: D86C2A80 52000015
	ds_read_b32 v83, v21 offset:10944                          // 000000009990: D86C2AC0 53000015
	ds_read_b32 v86, v21 offset:13056                          // 000000009998: D86C3300 56000015
	ds_read_b32 v87, v21 offset:13120                          // 0000000099A0: D86C3340 57000015
	ds_read_b32 v90, v21 offset:15232                          // 0000000099A8: D86C3B80 5A000015
	ds_read_b32 v91, v21 offset:15296                          // 0000000099B0: D86C3BC0 5B000015
	ds_read_b32 v94, v21 offset:17408                          // 0000000099B8: D86C4400 5E000015
	ds_read_b32 v95, v21 offset:17472                          // 0000000099C0: D86C4440 5F000015
	ds_read_b32 v98, v21 offset:19584                          // 0000000099C8: D86C4C80 62000015
	ds_read_b32 v99, v21 offset:19648                          // 0000000099D0: D86C4CC0 63000015
	s_waitcnt lgkmcnt(0)                                       // 0000000099D8: BF8CC07F
	v_mov_b32_e32 v7, 0                                        // 0000000099DC: 7E0E0280
	s_mov_b64 exec, s[36:37]                                   // 0000000099E0: BEFE0124
	v_mov_b32_e32 v6, v48                                      // 0000000099E4: 7E0C0330
	s_mov_b64 s[60:61], 0                                      // 0000000099E8: BEBC0180
	v_readlane_b32 s82, v3, 0                                  // 0000000099EC: D2890052 00010103
	s_and_b32 s82, s82, 0xffffff                               // 0000000099F4: 8652FF52 00FFFFFF
	s_cmp_lt_u32 s82, s66                                      // 0000000099FC: BF0A4252
	s_cselect_b32 s20, s36, s60                                // 000000009A00: 85143C24
	v_readlane_b32 s82, v3, 1                                  // 000000009A04: D2890052 00010303
	s_and_b32 s82, s82, 0xffffff                               // 000000009A0C: 8652FF52 00FFFFFF
	s_cmp_lt_u32 s82, s66                                      // 000000009A14: BF0A4252
	s_cselect_b32 s21, s36, s60                                // 000000009A18: 85153C24
	s_mov_b64 exec, s[20:21]                                   // 000000009A1C: BEFE0114
	global_atomic_add_f32 v6, v62, s[8:9] offset:8             // 000000009A20: DD348008 00083E06
	global_atomic_add_f32 v6, v66, s[8:9] offset:264           // 000000009A28: DD348108 00084206
	s_mov_b64 exec, s[36:37]                                   // 000000009A30: BEFE0124
	v_mov_b32_e32 v6, v49                                      // 000000009A34: 7E0C0331
	s_mov_b64 s[60:61], 0                                      // 000000009A38: BEBC0180
	v_readlane_b32 s82, v3, 2                                  // 000000009A3C: D2890052 00010503
	s_and_b32 s82, s82, 0xffffff                               // 000000009A44: 8652FF52 00FFFFFF
	s_cmp_lt_u32 s82, s66                                      // 000000009A4C: BF0A4252
	s_cselect_b32 s20, s36, s60                                // 000000009A50: 85143C24
	v_readlane_b32 s82, v3, 3                                  // 000000009A54: D2890052 00010703
	s_and_b32 s82, s82, 0xffffff                               // 000000009A5C: 8652FF52 00FFFFFF
	s_cmp_lt_u32 s82, s66                                      // 000000009A64: BF0A4252
	s_cselect_b32 s21, s36, s60                                // 000000009A68: 85153C24
	s_mov_b64 exec, s[20:21]                                   // 000000009A6C: BEFE0114
	global_atomic_add_f32 v6, v63, s[8:9] offset:8             // 000000009A70: DD348008 00083F06
	global_atomic_add_f32 v6, v67, s[8:9] offset:264           // 000000009A78: DD348108 00084306
	s_mov_b64 exec, s[36:37]                                   // 000000009A80: BEFE0124
	v_mov_b32_e32 v6, v50                                      // 000000009A84: 7E0C0332
	s_mov_b64 s[60:61], 0                                      // 000000009A88: BEBC0180
	v_readlane_b32 s82, v3, 4                                  // 000000009A8C: D2890052 00010903
	s_and_b32 s82, s82, 0xffffff                               // 000000009A94: 8652FF52 00FFFFFF
	s_cmp_lt_u32 s82, s66                                      // 000000009A9C: BF0A4252
	s_cselect_b32 s20, s36, s60                                // 000000009AA0: 85143C24
	v_readlane_b32 s82, v3, 5                                  // 000000009AA4: D2890052 00010B03
	s_and_b32 s82, s82, 0xffffff                               // 000000009AAC: 8652FF52 00FFFFFF
	s_cmp_lt_u32 s82, s66                                      // 000000009AB4: BF0A4252
	s_cselect_b32 s21, s36, s60                                // 000000009AB8: 85153C24
	s_mov_b64 exec, s[20:21]                                   // 000000009ABC: BEFE0114
	global_atomic_add_f32 v6, v70, s[8:9] offset:8             // 000000009AC0: DD348008 00084606
	global_atomic_add_f32 v6, v74, s[8:9] offset:264           // 000000009AC8: DD348108 00084A06
	s_mov_b64 exec, s[36:37]                                   // 000000009AD0: BEFE0124
	v_mov_b32_e32 v6, v51                                      // 000000009AD4: 7E0C0333
	s_mov_b64 s[60:61], 0                                      // 000000009AD8: BEBC0180
	v_readlane_b32 s82, v3, 6                                  // 000000009ADC: D2890052 00010D03
	s_and_b32 s82, s82, 0xffffff                               // 000000009AE4: 8652FF52 00FFFFFF
	s_cmp_lt_u32 s82, s66                                      // 000000009AEC: BF0A4252
	s_cselect_b32 s20, s36, s60                                // 000000009AF0: 85143C24
	v_readlane_b32 s82, v3, 7                                  // 000000009AF4: D2890052 00010F03
	s_and_b32 s82, s82, 0xffffff                               // 000000009AFC: 8652FF52 00FFFFFF
	s_cmp_lt_u32 s82, s66                                      // 000000009B04: BF0A4252
	s_cselect_b32 s21, s36, s60                                // 000000009B08: 85153C24
	s_mov_b64 exec, s[20:21]                                   // 000000009B0C: BEFE0114
	global_atomic_add_f32 v6, v71, s[8:9] offset:8             // 000000009B10: DD348008 00084706
	global_atomic_add_f32 v6, v75, s[8:9] offset:264           // 000000009B18: DD348108 00084B06
	s_mov_b64 exec, s[36:37]                                   // 000000009B20: BEFE0124
	v_mov_b32_e32 v6, v52                                      // 000000009B24: 7E0C0334
	s_mov_b64 s[60:61], 0                                      // 000000009B28: BEBC0180
	v_readlane_b32 s82, v3, 8                                  // 000000009B2C: D2890052 00011103
	s_and_b32 s82, s82, 0xffffff                               // 000000009B34: 8652FF52 00FFFFFF
	s_cmp_lt_u32 s82, s66                                      // 000000009B3C: BF0A4252
	s_cselect_b32 s20, s36, s60                                // 000000009B40: 85143C24
	v_readlane_b32 s82, v3, 9                                  // 000000009B44: D2890052 00011303
	s_and_b32 s82, s82, 0xffffff                               // 000000009B4C: 8652FF52 00FFFFFF
	s_cmp_lt_u32 s82, s66                                      // 000000009B54: BF0A4252
	s_cselect_b32 s21, s36, s60                                // 000000009B58: 85153C24
	s_mov_b64 exec, s[20:21]                                   // 000000009B5C: BEFE0114
	global_atomic_add_f32 v6, v78, s[8:9] offset:8             // 000000009B60: DD348008 00084E06
	global_atomic_add_f32 v6, v82, s[8:9] offset:264           // 000000009B68: DD348108 00085206
	s_mov_b64 exec, s[36:37]                                   // 000000009B70: BEFE0124
	v_mov_b32_e32 v6, v53                                      // 000000009B74: 7E0C0335
	s_mov_b64 s[60:61], 0                                      // 000000009B78: BEBC0180
	v_readlane_b32 s82, v3, 10                                 // 000000009B7C: D2890052 00011503
	s_and_b32 s82, s82, 0xffffff                               // 000000009B84: 8652FF52 00FFFFFF
	s_cmp_lt_u32 s82, s66                                      // 000000009B8C: BF0A4252
	s_cselect_b32 s20, s36, s60                                // 000000009B90: 85143C24
	v_readlane_b32 s82, v3, 11                                 // 000000009B94: D2890052 00011703
	s_and_b32 s82, s82, 0xffffff                               // 000000009B9C: 8652FF52 00FFFFFF
	s_cmp_lt_u32 s82, s66                                      // 000000009BA4: BF0A4252
	s_cselect_b32 s21, s36, s60                                // 000000009BA8: 85153C24
	s_mov_b64 exec, s[20:21]                                   // 000000009BAC: BEFE0114
	global_atomic_add_f32 v6, v79, s[8:9] offset:8             // 000000009BB0: DD348008 00084F06
	global_atomic_add_f32 v6, v83, s[8:9] offset:264           // 000000009BB8: DD348108 00085306
	s_mov_b64 exec, s[36:37]                                   // 000000009BC0: BEFE0124
	v_mov_b32_e32 v6, v54                                      // 000000009BC4: 7E0C0336
	s_mov_b64 s[60:61], 0                                      // 000000009BC8: BEBC0180
	v_readlane_b32 s82, v3, 12                                 // 000000009BCC: D2890052 00011903
	s_and_b32 s82, s82, 0xffffff                               // 000000009BD4: 8652FF52 00FFFFFF
	s_cmp_lt_u32 s82, s66                                      // 000000009BDC: BF0A4252
	s_cselect_b32 s20, s36, s60                                // 000000009BE0: 85143C24
	v_readlane_b32 s82, v3, 13                                 // 000000009BE4: D2890052 00011B03
	s_and_b32 s82, s82, 0xffffff                               // 000000009BEC: 8652FF52 00FFFFFF
	s_cmp_lt_u32 s82, s66                                      // 000000009BF4: BF0A4252
	s_cselect_b32 s21, s36, s60                                // 000000009BF8: 85153C24
	s_mov_b64 exec, s[20:21]                                   // 000000009BFC: BEFE0114
	global_atomic_add_f32 v6, v86, s[8:9] offset:8             // 000000009C00: DD348008 00085606
	global_atomic_add_f32 v6, v90, s[8:9] offset:264           // 000000009C08: DD348108 00085A06
	s_mov_b64 exec, s[36:37]                                   // 000000009C10: BEFE0124
	v_mov_b32_e32 v6, v55                                      // 000000009C14: 7E0C0337
	s_mov_b64 s[60:61], 0                                      // 000000009C18: BEBC0180
	v_readlane_b32 s82, v3, 14                                 // 000000009C1C: D2890052 00011D03
	s_and_b32 s82, s82, 0xffffff                               // 000000009C24: 8652FF52 00FFFFFF
	s_cmp_lt_u32 s82, s66                                      // 000000009C2C: BF0A4252
	s_cselect_b32 s20, s36, s60                                // 000000009C30: 85143C24
	v_readlane_b32 s82, v3, 15                                 // 000000009C34: D2890052 00011F03
	s_and_b32 s82, s82, 0xffffff                               // 000000009C3C: 8652FF52 00FFFFFF
	s_cmp_lt_u32 s82, s66                                      // 000000009C44: BF0A4252
	s_cselect_b32 s21, s36, s60                                // 000000009C48: 85153C24
	s_mov_b64 exec, s[20:21]                                   // 000000009C4C: BEFE0114
	global_atomic_add_f32 v6, v87, s[8:9] offset:8             // 000000009C50: DD348008 00085706
	global_atomic_add_f32 v6, v91, s[8:9] offset:264           // 000000009C58: DD348108 00085B06
	s_mov_b64 exec, s[36:37]                                   // 000000009C60: BEFE0124
	v_mov_b32_e32 v6, v56                                      // 000000009C64: 7E0C0338
	s_mov_b64 s[60:61], 0                                      // 000000009C68: BEBC0180
	v_readlane_b32 s82, v3, 16                                 // 000000009C6C: D2890052 00012103
	s_and_b32 s82, s82, 0xffffff                               // 000000009C74: 8652FF52 00FFFFFF
	s_cmp_lt_u32 s82, s66                                      // 000000009C7C: BF0A4252
	s_cselect_b32 s20, s36, s60                                // 000000009C80: 85143C24
	v_readlane_b32 s82, v3, 17                                 // 000000009C84: D2890052 00012303
	s_and_b32 s82, s82, 0xffffff                               // 000000009C8C: 8652FF52 00FFFFFF
	s_cmp_lt_u32 s82, s66                                      // 000000009C94: BF0A4252
	s_cselect_b32 s21, s36, s60                                // 000000009C98: 85153C24
	s_mov_b64 exec, s[20:21]                                   // 000000009C9C: BEFE0114
	global_atomic_add_f32 v6, v94, s[8:9] offset:8             // 000000009CA0: DD348008 00085E06
	global_atomic_add_f32 v6, v98, s[8:9] offset:264           // 000000009CA8: DD348108 00086206
	s_mov_b64 exec, s[36:37]                                   // 000000009CB0: BEFE0124
	v_mov_b32_e32 v6, v57                                      // 000000009CB4: 7E0C0339
	s_mov_b64 s[60:61], 0                                      // 000000009CB8: BEBC0180
	v_readlane_b32 s82, v3, 18                                 // 000000009CBC: D2890052 00012503
	s_and_b32 s82, s82, 0xffffff                               // 000000009CC4: 8652FF52 00FFFFFF
	s_cmp_lt_u32 s82, s66                                      // 000000009CCC: BF0A4252
	s_cselect_b32 s20, s36, s60                                // 000000009CD0: 85143C24
	v_readlane_b32 s82, v3, 19                                 // 000000009CD4: D2890052 00012703
	s_and_b32 s82, s82, 0xffffff                               // 000000009CDC: 8652FF52 00FFFFFF
	s_cmp_lt_u32 s82, s66                                      // 000000009CE4: BF0A4252
	s_cselect_b32 s21, s36, s60                                // 000000009CE8: 85153C24
	s_mov_b64 exec, s[20:21]                                   // 000000009CEC: BEFE0114
	global_atomic_add_f32 v6, v95, s[8:9] offset:8             // 000000009CF0: DD348008 00085F06
	global_atomic_add_f32 v6, v99, s[8:9] offset:264           // 000000009CF8: DD348108 00086306
	s_mov_b64 exec, s[36:37]                                   // 000000009D00: BEFE0124
	ds_write_b64 v20, v[100:101]                               // 000000009D04: D89A0000 00006414
	ds_write_b64 v20, v[104:105] offset:4352                   // 000000009D0C: D89A1100 00006814
	ds_write_b64 v20, v[108:109] offset:8704                   // 000000009D14: D89A2200 00006C14
	ds_write_b64 v20, v[112:113] offset:13056                  // 000000009D1C: D89A3300 00007014
	ds_write_b64 v20, v[116:117] offset:17408                  // 000000009D24: D89A4400 00007414
	ds_write_b64 v20, v[120:121] offset:2176                   // 000000009D2C: D89A0880 00007814
	ds_write_b64 v20, v[124:125] offset:6528                   // 000000009D34: D89A1980 00007C14
	ds_write_b64 v20, v[128:129] offset:10880                  // 000000009D3C: D89A2A80 00008014
	ds_write_b64 v20, v[132:133] offset:15232                  // 000000009D44: D89A3B80 00008414
	ds_write_b64 v20, v[136:137] offset:19584                  // 000000009D4C: D89A4C80 00008814
	s_waitcnt lgkmcnt(0)                                       // 000000009D54: BF8CC07F
	s_barrier                                                  // 000000009D58: BF8A0000
	ds_read_b32 v100, v21                                      // 000000009D5C: D86C0000 64000015
	ds_read_b32 v101, v21 offset:64                            // 000000009D64: D86C0040 65000015
	ds_read_b32 v104, v21 offset:2176                          // 000000009D6C: D86C0880 68000015
	ds_read_b32 v105, v21 offset:2240                          // 000000009D74: D86C08C0 69000015
	ds_read_b32 v108, v21 offset:4352                          // 000000009D7C: D86C1100 6C000015
	ds_read_b32 v109, v21 offset:4416                          // 000000009D84: D86C1140 6D000015
	ds_read_b32 v112, v21 offset:6528                          // 000000009D8C: D86C1980 70000015
	ds_read_b32 v113, v21 offset:6592                          // 000000009D94: D86C19C0 71000015
	ds_read_b32 v116, v21 offset:8704                          // 000000009D9C: D86C2200 74000015
	ds_read_b32 v117, v21 offset:8768                          // 000000009DA4: D86C2240 75000015
	ds_read_b32 v120, v21 offset:10880                         // 000000009DAC: D86C2A80 78000015
	ds_read_b32 v121, v21 offset:10944                         // 000000009DB4: D86C2AC0 79000015
	ds_read_b32 v124, v21 offset:13056                         // 000000009DBC: D86C3300 7C000015
	ds_read_b32 v125, v21 offset:13120                         // 000000009DC4: D86C3340 7D000015
	ds_read_b32 v128, v21 offset:15232                         // 000000009DCC: D86C3B80 80000015
	ds_read_b32 v129, v21 offset:15296                         // 000000009DD4: D86C3BC0 81000015
	ds_read_b32 v132, v21 offset:17408                         // 000000009DDC: D86C4400 84000015
	ds_read_b32 v133, v21 offset:17472                         // 000000009DE4: D86C4440 85000015
	ds_read_b32 v136, v21 offset:19584                         // 000000009DEC: D86C4C80 88000015
	ds_read_b32 v137, v21 offset:19648                         // 000000009DF4: D86C4CC0 89000015
	s_mul_i32 s60, s65, 4                                      // 000000009DFC: 923C8441
	s_add_u32 s8, s60, s8                                      // 000000009E00: 8008083C
	s_addc_u32 s9, 0, s9                                       // 000000009E04: 82090980
	s_waitcnt lgkmcnt(0)                                       // 000000009E08: BF8CC07F
	v_mov_b32_e32 v7, 0                                        // 000000009E0C: 7E0E0280
	s_mov_b64 exec, s[36:37]                                   // 000000009E10: BEFE0124
	v_mov_b32_e32 v6, v48                                      // 000000009E14: 7E0C0330
	s_mov_b64 s[60:61], 0                                      // 000000009E18: BEBC0180
	v_readlane_b32 s82, v3, 0                                  // 000000009E1C: D2890052 00010103
	s_and_b32 s82, s82, 0xffffff                               // 000000009E24: 8652FF52 00FFFFFF
	s_cmp_lt_u32 s82, s66                                      // 000000009E2C: BF0A4252
	s_cselect_b32 s20, s36, s60                                // 000000009E30: 85143C24
	v_readlane_b32 s82, v3, 1                                  // 000000009E34: D2890052 00010303
	s_and_b32 s82, s82, 0xffffff                               // 000000009E3C: 8652FF52 00FFFFFF
	s_cmp_lt_u32 s82, s66                                      // 000000009E44: BF0A4252
	s_cselect_b32 s21, s36, s60                                // 000000009E48: 85153C24
	s_mov_b64 exec, s[20:21]                                   // 000000009E4C: BEFE0114
	global_atomic_add_f32 v6, v100, s[8:9]                     // 000000009E50: DD348000 00086406
	global_atomic_add_f32 v6, v104, s[8:9] offset:256          // 000000009E58: DD348100 00086806
	s_mov_b64 exec, s[36:37]                                   // 000000009E60: BEFE0124
	v_mov_b32_e32 v6, v49                                      // 000000009E64: 7E0C0331
	s_mov_b64 s[60:61], 0                                      // 000000009E68: BEBC0180
	v_readlane_b32 s82, v3, 2                                  // 000000009E6C: D2890052 00010503
	s_and_b32 s82, s82, 0xffffff                               // 000000009E74: 8652FF52 00FFFFFF
	s_cmp_lt_u32 s82, s66                                      // 000000009E7C: BF0A4252
	s_cselect_b32 s20, s36, s60                                // 000000009E80: 85143C24
	v_readlane_b32 s82, v3, 3                                  // 000000009E84: D2890052 00010703
	s_and_b32 s82, s82, 0xffffff                               // 000000009E8C: 8652FF52 00FFFFFF
	s_cmp_lt_u32 s82, s66                                      // 000000009E94: BF0A4252
	s_cselect_b32 s21, s36, s60                                // 000000009E98: 85153C24
	s_mov_b64 exec, s[20:21]                                   // 000000009E9C: BEFE0114
	global_atomic_add_f32 v6, v101, s[8:9]                     // 000000009EA0: DD348000 00086506
	global_atomic_add_f32 v6, v105, s[8:9] offset:256          // 000000009EA8: DD348100 00086906
	s_mov_b64 exec, s[36:37]                                   // 000000009EB0: BEFE0124
	v_mov_b32_e32 v6, v50                                      // 000000009EB4: 7E0C0332
	s_mov_b64 s[60:61], 0                                      // 000000009EB8: BEBC0180
	v_readlane_b32 s82, v3, 4                                  // 000000009EBC: D2890052 00010903
	s_and_b32 s82, s82, 0xffffff                               // 000000009EC4: 8652FF52 00FFFFFF
	s_cmp_lt_u32 s82, s66                                      // 000000009ECC: BF0A4252
	s_cselect_b32 s20, s36, s60                                // 000000009ED0: 85143C24
	v_readlane_b32 s82, v3, 5                                  // 000000009ED4: D2890052 00010B03
	s_and_b32 s82, s82, 0xffffff                               // 000000009EDC: 8652FF52 00FFFFFF
	s_cmp_lt_u32 s82, s66                                      // 000000009EE4: BF0A4252
	s_cselect_b32 s21, s36, s60                                // 000000009EE8: 85153C24
	s_mov_b64 exec, s[20:21]                                   // 000000009EEC: BEFE0114
	global_atomic_add_f32 v6, v108, s[8:9]                     // 000000009EF0: DD348000 00086C06
	global_atomic_add_f32 v6, v112, s[8:9] offset:256          // 000000009EF8: DD348100 00087006
	s_mov_b64 exec, s[36:37]                                   // 000000009F00: BEFE0124
	v_mov_b32_e32 v6, v51                                      // 000000009F04: 7E0C0333
	s_mov_b64 s[60:61], 0                                      // 000000009F08: BEBC0180
	v_readlane_b32 s82, v3, 6                                  // 000000009F0C: D2890052 00010D03
	s_and_b32 s82, s82, 0xffffff                               // 000000009F14: 8652FF52 00FFFFFF
	s_cmp_lt_u32 s82, s66                                      // 000000009F1C: BF0A4252
	s_cselect_b32 s20, s36, s60                                // 000000009F20: 85143C24
	v_readlane_b32 s82, v3, 7                                  // 000000009F24: D2890052 00010F03
	s_and_b32 s82, s82, 0xffffff                               // 000000009F2C: 8652FF52 00FFFFFF
	s_cmp_lt_u32 s82, s66                                      // 000000009F34: BF0A4252
	s_cselect_b32 s21, s36, s60                                // 000000009F38: 85153C24
	s_mov_b64 exec, s[20:21]                                   // 000000009F3C: BEFE0114
	global_atomic_add_f32 v6, v109, s[8:9]                     // 000000009F40: DD348000 00086D06
	global_atomic_add_f32 v6, v113, s[8:9] offset:256          // 000000009F48: DD348100 00087106
	s_mov_b64 exec, s[36:37]                                   // 000000009F50: BEFE0124
	v_mov_b32_e32 v6, v52                                      // 000000009F54: 7E0C0334
	s_mov_b64 s[60:61], 0                                      // 000000009F58: BEBC0180
	v_readlane_b32 s82, v3, 8                                  // 000000009F5C: D2890052 00011103
	s_and_b32 s82, s82, 0xffffff                               // 000000009F64: 8652FF52 00FFFFFF
	s_cmp_lt_u32 s82, s66                                      // 000000009F6C: BF0A4252
	s_cselect_b32 s20, s36, s60                                // 000000009F70: 85143C24
	v_readlane_b32 s82, v3, 9                                  // 000000009F74: D2890052 00011303
	s_and_b32 s82, s82, 0xffffff                               // 000000009F7C: 8652FF52 00FFFFFF
	s_cmp_lt_u32 s82, s66                                      // 000000009F84: BF0A4252
	s_cselect_b32 s21, s36, s60                                // 000000009F88: 85153C24
	s_mov_b64 exec, s[20:21]                                   // 000000009F8C: BEFE0114
	global_atomic_add_f32 v6, v116, s[8:9]                     // 000000009F90: DD348000 00087406
	global_atomic_add_f32 v6, v120, s[8:9] offset:256          // 000000009F98: DD348100 00087806
	s_mov_b64 exec, s[36:37]                                   // 000000009FA0: BEFE0124
	v_mov_b32_e32 v6, v53                                      // 000000009FA4: 7E0C0335
	s_mov_b64 s[60:61], 0                                      // 000000009FA8: BEBC0180
	v_readlane_b32 s82, v3, 10                                 // 000000009FAC: D2890052 00011503
	s_and_b32 s82, s82, 0xffffff                               // 000000009FB4: 8652FF52 00FFFFFF
	s_cmp_lt_u32 s82, s66                                      // 000000009FBC: BF0A4252
	s_cselect_b32 s20, s36, s60                                // 000000009FC0: 85143C24
	v_readlane_b32 s82, v3, 11                                 // 000000009FC4: D2890052 00011703
	s_and_b32 s82, s82, 0xffffff                               // 000000009FCC: 8652FF52 00FFFFFF
	s_cmp_lt_u32 s82, s66                                      // 000000009FD4: BF0A4252
	s_cselect_b32 s21, s36, s60                                // 000000009FD8: 85153C24
	s_mov_b64 exec, s[20:21]                                   // 000000009FDC: BEFE0114
	global_atomic_add_f32 v6, v117, s[8:9]                     // 000000009FE0: DD348000 00087506
	global_atomic_add_f32 v6, v121, s[8:9] offset:256          // 000000009FE8: DD348100 00087906
	s_mov_b64 exec, s[36:37]                                   // 000000009FF0: BEFE0124
	v_mov_b32_e32 v6, v54                                      // 000000009FF4: 7E0C0336
	s_mov_b64 s[60:61], 0                                      // 000000009FF8: BEBC0180
	v_readlane_b32 s82, v3, 12                                 // 000000009FFC: D2890052 00011903
	s_and_b32 s82, s82, 0xffffff                               // 00000000A004: 8652FF52 00FFFFFF
	s_cmp_lt_u32 s82, s66                                      // 00000000A00C: BF0A4252
	s_cselect_b32 s20, s36, s60                                // 00000000A010: 85143C24
	v_readlane_b32 s82, v3, 13                                 // 00000000A014: D2890052 00011B03
	s_and_b32 s82, s82, 0xffffff                               // 00000000A01C: 8652FF52 00FFFFFF
	s_cmp_lt_u32 s82, s66                                      // 00000000A024: BF0A4252
	s_cselect_b32 s21, s36, s60                                // 00000000A028: 85153C24
	s_mov_b64 exec, s[20:21]                                   // 00000000A02C: BEFE0114
	global_atomic_add_f32 v6, v124, s[8:9]                     // 00000000A030: DD348000 00087C06
	global_atomic_add_f32 v6, v128, s[8:9] offset:256          // 00000000A038: DD348100 00088006
	s_mov_b64 exec, s[36:37]                                   // 00000000A040: BEFE0124
	v_mov_b32_e32 v6, v55                                      // 00000000A044: 7E0C0337
	s_mov_b64 s[60:61], 0                                      // 00000000A048: BEBC0180
	v_readlane_b32 s82, v3, 14                                 // 00000000A04C: D2890052 00011D03
	s_and_b32 s82, s82, 0xffffff                               // 00000000A054: 8652FF52 00FFFFFF
	s_cmp_lt_u32 s82, s66                                      // 00000000A05C: BF0A4252
	s_cselect_b32 s20, s36, s60                                // 00000000A060: 85143C24
	v_readlane_b32 s82, v3, 15                                 // 00000000A064: D2890052 00011F03
	s_and_b32 s82, s82, 0xffffff                               // 00000000A06C: 8652FF52 00FFFFFF
	s_cmp_lt_u32 s82, s66                                      // 00000000A074: BF0A4252
	s_cselect_b32 s21, s36, s60                                // 00000000A078: 85153C24
	s_mov_b64 exec, s[20:21]                                   // 00000000A07C: BEFE0114
	global_atomic_add_f32 v6, v125, s[8:9]                     // 00000000A080: DD348000 00087D06
	global_atomic_add_f32 v6, v129, s[8:9] offset:256          // 00000000A088: DD348100 00088106
	s_mov_b64 exec, s[36:37]                                   // 00000000A090: BEFE0124
	v_mov_b32_e32 v6, v56                                      // 00000000A094: 7E0C0338
	s_mov_b64 s[60:61], 0                                      // 00000000A098: BEBC0180
	v_readlane_b32 s82, v3, 16                                 // 00000000A09C: D2890052 00012103
	s_and_b32 s82, s82, 0xffffff                               // 00000000A0A4: 8652FF52 00FFFFFF
	s_cmp_lt_u32 s82, s66                                      // 00000000A0AC: BF0A4252
	s_cselect_b32 s20, s36, s60                                // 00000000A0B0: 85143C24
	v_readlane_b32 s82, v3, 17                                 // 00000000A0B4: D2890052 00012303
	s_and_b32 s82, s82, 0xffffff                               // 00000000A0BC: 8652FF52 00FFFFFF
	s_cmp_lt_u32 s82, s66                                      // 00000000A0C4: BF0A4252
	s_cselect_b32 s21, s36, s60                                // 00000000A0C8: 85153C24
	s_mov_b64 exec, s[20:21]                                   // 00000000A0CC: BEFE0114
	global_atomic_add_f32 v6, v132, s[8:9]                     // 00000000A0D0: DD348000 00088406
	global_atomic_add_f32 v6, v136, s[8:9] offset:256          // 00000000A0D8: DD348100 00088806
	s_mov_b64 exec, s[36:37]                                   // 00000000A0E0: BEFE0124
	v_mov_b32_e32 v6, v57                                      // 00000000A0E4: 7E0C0339
	s_mov_b64 s[60:61], 0                                      // 00000000A0E8: BEBC0180
	v_readlane_b32 s82, v3, 18                                 // 00000000A0EC: D2890052 00012503
	s_and_b32 s82, s82, 0xffffff                               // 00000000A0F4: 8652FF52 00FFFFFF
	s_cmp_lt_u32 s82, s66                                      // 00000000A0FC: BF0A4252
	s_cselect_b32 s20, s36, s60                                // 00000000A100: 85143C24
	v_readlane_b32 s82, v3, 19                                 // 00000000A104: D2890052 00012703
	s_and_b32 s82, s82, 0xffffff                               // 00000000A10C: 8652FF52 00FFFFFF
	s_cmp_lt_u32 s82, s66                                      // 00000000A114: BF0A4252
	s_cselect_b32 s21, s36, s60                                // 00000000A118: 85153C24
	s_mov_b64 exec, s[20:21]                                   // 00000000A11C: BEFE0114
	global_atomic_add_f32 v6, v133, s[8:9]                     // 00000000A120: DD348000 00088506
	global_atomic_add_f32 v6, v137, s[8:9] offset:256          // 00000000A128: DD348100 00088906
	s_mov_b64 exec, s[36:37]                                   // 00000000A130: BEFE0124
	ds_write_b64 v20, v[102:103]                               // 00000000A134: D89A0000 00006614
	ds_write_b64 v20, v[106:107] offset:4352                   // 00000000A13C: D89A1100 00006A14
	ds_write_b64 v20, v[110:111] offset:8704                   // 00000000A144: D89A2200 00006E14
	ds_write_b64 v20, v[114:115] offset:13056                  // 00000000A14C: D89A3300 00007214
	ds_write_b64 v20, v[118:119] offset:17408                  // 00000000A154: D89A4400 00007614
	ds_write_b64 v20, v[122:123] offset:2176                   // 00000000A15C: D89A0880 00007A14
	ds_write_b64 v20, v[126:127] offset:6528                   // 00000000A164: D89A1980 00007E14
	ds_write_b64 v20, v[130:131] offset:10880                  // 00000000A16C: D89A2A80 00008214
	ds_write_b64 v20, v[134:135] offset:15232                  // 00000000A174: D89A3B80 00008614
	ds_write_b64 v20, v[138:139] offset:19584                  // 00000000A17C: D89A4C80 00008A14
	s_waitcnt lgkmcnt(0)                                       // 00000000A184: BF8CC07F
	s_barrier                                                  // 00000000A188: BF8A0000
	ds_read_b32 v102, v21                                      // 00000000A18C: D86C0000 66000015
	ds_read_b32 v103, v21 offset:64                            // 00000000A194: D86C0040 67000015
	ds_read_b32 v106, v21 offset:2176                          // 00000000A19C: D86C0880 6A000015
	ds_read_b32 v107, v21 offset:2240                          // 00000000A1A4: D86C08C0 6B000015
	ds_read_b32 v110, v21 offset:4352                          // 00000000A1AC: D86C1100 6E000015
	ds_read_b32 v111, v21 offset:4416                          // 00000000A1B4: D86C1140 6F000015
	ds_read_b32 v114, v21 offset:6528                          // 00000000A1BC: D86C1980 72000015
	ds_read_b32 v115, v21 offset:6592                          // 00000000A1C4: D86C19C0 73000015
	ds_read_b32 v118, v21 offset:8704                          // 00000000A1CC: D86C2200 76000015
	ds_read_b32 v119, v21 offset:8768                          // 00000000A1D4: D86C2240 77000015
	ds_read_b32 v122, v21 offset:10880                         // 00000000A1DC: D86C2A80 7A000015
	ds_read_b32 v123, v21 offset:10944                         // 00000000A1E4: D86C2AC0 7B000015
	ds_read_b32 v126, v21 offset:13056                         // 00000000A1EC: D86C3300 7E000015
	ds_read_b32 v127, v21 offset:13120                         // 00000000A1F4: D86C3340 7F000015
	ds_read_b32 v130, v21 offset:15232                         // 00000000A1FC: D86C3B80 82000015
	ds_read_b32 v131, v21 offset:15296                         // 00000000A204: D86C3BC0 83000015
	ds_read_b32 v134, v21 offset:17408                         // 00000000A20C: D86C4400 86000015
	ds_read_b32 v135, v21 offset:17472                         // 00000000A214: D86C4440 87000015
	ds_read_b32 v138, v21 offset:19584                         // 00000000A21C: D86C4C80 8A000015
	ds_read_b32 v139, v21 offset:19648                         // 00000000A224: D86C4CC0 8B000015
	s_waitcnt lgkmcnt(0)                                       // 00000000A22C: BF8CC07F
	v_mov_b32_e32 v7, 0                                        // 00000000A230: 7E0E0280
	s_mov_b64 exec, s[36:37]                                   // 00000000A234: BEFE0124
	v_mov_b32_e32 v6, v48                                      // 00000000A238: 7E0C0330
	s_mov_b64 s[60:61], 0                                      // 00000000A23C: BEBC0180
	v_readlane_b32 s82, v3, 0                                  // 00000000A240: D2890052 00010103
	s_and_b32 s82, s82, 0xffffff                               // 00000000A248: 8652FF52 00FFFFFF
	s_cmp_lt_u32 s82, s66                                      // 00000000A250: BF0A4252
	s_cselect_b32 s20, s36, s60                                // 00000000A254: 85143C24
	v_readlane_b32 s82, v3, 1                                  // 00000000A258: D2890052 00010303
	s_and_b32 s82, s82, 0xffffff                               // 00000000A260: 8652FF52 00FFFFFF
	s_cmp_lt_u32 s82, s66                                      // 00000000A268: BF0A4252
	s_cselect_b32 s21, s36, s60                                // 00000000A26C: 85153C24
	s_mov_b64 exec, s[20:21]                                   // 00000000A270: BEFE0114
	global_atomic_add_f32 v6, v102, s[8:9] offset:8            // 00000000A274: DD348008 00086606
	global_atomic_add_f32 v6, v106, s[8:9] offset:264          // 00000000A27C: DD348108 00086A06
	s_mov_b64 exec, s[36:37]                                   // 00000000A284: BEFE0124
	v_mov_b32_e32 v6, v49                                      // 00000000A288: 7E0C0331
	s_mov_b64 s[60:61], 0                                      // 00000000A28C: BEBC0180
	v_readlane_b32 s82, v3, 2                                  // 00000000A290: D2890052 00010503
	s_and_b32 s82, s82, 0xffffff                               // 00000000A298: 8652FF52 00FFFFFF
	s_cmp_lt_u32 s82, s66                                      // 00000000A2A0: BF0A4252
	s_cselect_b32 s20, s36, s60                                // 00000000A2A4: 85143C24
	v_readlane_b32 s82, v3, 3                                  // 00000000A2A8: D2890052 00010703
	s_and_b32 s82, s82, 0xffffff                               // 00000000A2B0: 8652FF52 00FFFFFF
	s_cmp_lt_u32 s82, s66                                      // 00000000A2B8: BF0A4252
	s_cselect_b32 s21, s36, s60                                // 00000000A2BC: 85153C24
	s_mov_b64 exec, s[20:21]                                   // 00000000A2C0: BEFE0114
	global_atomic_add_f32 v6, v103, s[8:9] offset:8            // 00000000A2C4: DD348008 00086706
	global_atomic_add_f32 v6, v107, s[8:9] offset:264          // 00000000A2CC: DD348108 00086B06
	s_mov_b64 exec, s[36:37]                                   // 00000000A2D4: BEFE0124
	v_mov_b32_e32 v6, v50                                      // 00000000A2D8: 7E0C0332
	s_mov_b64 s[60:61], 0                                      // 00000000A2DC: BEBC0180
	v_readlane_b32 s82, v3, 4                                  // 00000000A2E0: D2890052 00010903
	s_and_b32 s82, s82, 0xffffff                               // 00000000A2E8: 8652FF52 00FFFFFF
	s_cmp_lt_u32 s82, s66                                      // 00000000A2F0: BF0A4252
	s_cselect_b32 s20, s36, s60                                // 00000000A2F4: 85143C24
	v_readlane_b32 s82, v3, 5                                  // 00000000A2F8: D2890052 00010B03
	s_and_b32 s82, s82, 0xffffff                               // 00000000A300: 8652FF52 00FFFFFF
	s_cmp_lt_u32 s82, s66                                      // 00000000A308: BF0A4252
	s_cselect_b32 s21, s36, s60                                // 00000000A30C: 85153C24
	s_mov_b64 exec, s[20:21]                                   // 00000000A310: BEFE0114
	global_atomic_add_f32 v6, v110, s[8:9] offset:8            // 00000000A314: DD348008 00086E06
	global_atomic_add_f32 v6, v114, s[8:9] offset:264          // 00000000A31C: DD348108 00087206
	s_mov_b64 exec, s[36:37]                                   // 00000000A324: BEFE0124
	v_mov_b32_e32 v6, v51                                      // 00000000A328: 7E0C0333
	s_mov_b64 s[60:61], 0                                      // 00000000A32C: BEBC0180
	v_readlane_b32 s82, v3, 6                                  // 00000000A330: D2890052 00010D03
	s_and_b32 s82, s82, 0xffffff                               // 00000000A338: 8652FF52 00FFFFFF
	s_cmp_lt_u32 s82, s66                                      // 00000000A340: BF0A4252
	s_cselect_b32 s20, s36, s60                                // 00000000A344: 85143C24
	v_readlane_b32 s82, v3, 7                                  // 00000000A348: D2890052 00010F03
	s_and_b32 s82, s82, 0xffffff                               // 00000000A350: 8652FF52 00FFFFFF
	s_cmp_lt_u32 s82, s66                                      // 00000000A358: BF0A4252
	s_cselect_b32 s21, s36, s60                                // 00000000A35C: 85153C24
	s_mov_b64 exec, s[20:21]                                   // 00000000A360: BEFE0114
	global_atomic_add_f32 v6, v111, s[8:9] offset:8            // 00000000A364: DD348008 00086F06
	global_atomic_add_f32 v6, v115, s[8:9] offset:264          // 00000000A36C: DD348108 00087306
	s_mov_b64 exec, s[36:37]                                   // 00000000A374: BEFE0124
	v_mov_b32_e32 v6, v52                                      // 00000000A378: 7E0C0334
	s_mov_b64 s[60:61], 0                                      // 00000000A37C: BEBC0180
	v_readlane_b32 s82, v3, 8                                  // 00000000A380: D2890052 00011103
	s_and_b32 s82, s82, 0xffffff                               // 00000000A388: 8652FF52 00FFFFFF
	s_cmp_lt_u32 s82, s66                                      // 00000000A390: BF0A4252
	s_cselect_b32 s20, s36, s60                                // 00000000A394: 85143C24
	v_readlane_b32 s82, v3, 9                                  // 00000000A398: D2890052 00011303
	s_and_b32 s82, s82, 0xffffff                               // 00000000A3A0: 8652FF52 00FFFFFF
	s_cmp_lt_u32 s82, s66                                      // 00000000A3A8: BF0A4252
	s_cselect_b32 s21, s36, s60                                // 00000000A3AC: 85153C24
	s_mov_b64 exec, s[20:21]                                   // 00000000A3B0: BEFE0114
	global_atomic_add_f32 v6, v118, s[8:9] offset:8            // 00000000A3B4: DD348008 00087606
	global_atomic_add_f32 v6, v122, s[8:9] offset:264          // 00000000A3BC: DD348108 00087A06
	s_mov_b64 exec, s[36:37]                                   // 00000000A3C4: BEFE0124
	v_mov_b32_e32 v6, v53                                      // 00000000A3C8: 7E0C0335
	s_mov_b64 s[60:61], 0                                      // 00000000A3CC: BEBC0180
	v_readlane_b32 s82, v3, 10                                 // 00000000A3D0: D2890052 00011503
	s_and_b32 s82, s82, 0xffffff                               // 00000000A3D8: 8652FF52 00FFFFFF
	s_cmp_lt_u32 s82, s66                                      // 00000000A3E0: BF0A4252
	s_cselect_b32 s20, s36, s60                                // 00000000A3E4: 85143C24
	v_readlane_b32 s82, v3, 11                                 // 00000000A3E8: D2890052 00011703
	s_and_b32 s82, s82, 0xffffff                               // 00000000A3F0: 8652FF52 00FFFFFF
	s_cmp_lt_u32 s82, s66                                      // 00000000A3F8: BF0A4252
	s_cselect_b32 s21, s36, s60                                // 00000000A3FC: 85153C24
	s_mov_b64 exec, s[20:21]                                   // 00000000A400: BEFE0114
	global_atomic_add_f32 v6, v119, s[8:9] offset:8            // 00000000A404: DD348008 00087706
	global_atomic_add_f32 v6, v123, s[8:9] offset:264          // 00000000A40C: DD348108 00087B06
	s_mov_b64 exec, s[36:37]                                   // 00000000A414: BEFE0124
	v_mov_b32_e32 v6, v54                                      // 00000000A418: 7E0C0336
	s_mov_b64 s[60:61], 0                                      // 00000000A41C: BEBC0180
	v_readlane_b32 s82, v3, 12                                 // 00000000A420: D2890052 00011903
	s_and_b32 s82, s82, 0xffffff                               // 00000000A428: 8652FF52 00FFFFFF
	s_cmp_lt_u32 s82, s66                                      // 00000000A430: BF0A4252
	s_cselect_b32 s20, s36, s60                                // 00000000A434: 85143C24
	v_readlane_b32 s82, v3, 13                                 // 00000000A438: D2890052 00011B03
	s_and_b32 s82, s82, 0xffffff                               // 00000000A440: 8652FF52 00FFFFFF
	s_cmp_lt_u32 s82, s66                                      // 00000000A448: BF0A4252
	s_cselect_b32 s21, s36, s60                                // 00000000A44C: 85153C24
	s_mov_b64 exec, s[20:21]                                   // 00000000A450: BEFE0114
	global_atomic_add_f32 v6, v126, s[8:9] offset:8            // 00000000A454: DD348008 00087E06
	global_atomic_add_f32 v6, v130, s[8:9] offset:264          // 00000000A45C: DD348108 00088206
	s_mov_b64 exec, s[36:37]                                   // 00000000A464: BEFE0124
	v_mov_b32_e32 v6, v55                                      // 00000000A468: 7E0C0337
	s_mov_b64 s[60:61], 0                                      // 00000000A46C: BEBC0180
	v_readlane_b32 s82, v3, 14                                 // 00000000A470: D2890052 00011D03
	s_and_b32 s82, s82, 0xffffff                               // 00000000A478: 8652FF52 00FFFFFF
	s_cmp_lt_u32 s82, s66                                      // 00000000A480: BF0A4252
	s_cselect_b32 s20, s36, s60                                // 00000000A484: 85143C24
	v_readlane_b32 s82, v3, 15                                 // 00000000A488: D2890052 00011F03
	s_and_b32 s82, s82, 0xffffff                               // 00000000A490: 8652FF52 00FFFFFF
	s_cmp_lt_u32 s82, s66                                      // 00000000A498: BF0A4252
	s_cselect_b32 s21, s36, s60                                // 00000000A49C: 85153C24
	s_mov_b64 exec, s[20:21]                                   // 00000000A4A0: BEFE0114
	global_atomic_add_f32 v6, v127, s[8:9] offset:8            // 00000000A4A4: DD348008 00087F06
	global_atomic_add_f32 v6, v131, s[8:9] offset:264          // 00000000A4AC: DD348108 00088306
	s_mov_b64 exec, s[36:37]                                   // 00000000A4B4: BEFE0124
	v_mov_b32_e32 v6, v56                                      // 00000000A4B8: 7E0C0338
	s_mov_b64 s[60:61], 0                                      // 00000000A4BC: BEBC0180
	v_readlane_b32 s82, v3, 16                                 // 00000000A4C0: D2890052 00012103
	s_and_b32 s82, s82, 0xffffff                               // 00000000A4C8: 8652FF52 00FFFFFF
	s_cmp_lt_u32 s82, s66                                      // 00000000A4D0: BF0A4252
	s_cselect_b32 s20, s36, s60                                // 00000000A4D4: 85143C24
	v_readlane_b32 s82, v3, 17                                 // 00000000A4D8: D2890052 00012303
	s_and_b32 s82, s82, 0xffffff                               // 00000000A4E0: 8652FF52 00FFFFFF
	s_cmp_lt_u32 s82, s66                                      // 00000000A4E8: BF0A4252
	s_cselect_b32 s21, s36, s60                                // 00000000A4EC: 85153C24
	s_mov_b64 exec, s[20:21]                                   // 00000000A4F0: BEFE0114
	global_atomic_add_f32 v6, v134, s[8:9] offset:8            // 00000000A4F4: DD348008 00088606
	global_atomic_add_f32 v6, v138, s[8:9] offset:264          // 00000000A4FC: DD348108 00088A06
	s_mov_b64 exec, s[36:37]                                   // 00000000A504: BEFE0124
	v_mov_b32_e32 v6, v57                                      // 00000000A508: 7E0C0339
	s_mov_b64 s[60:61], 0                                      // 00000000A50C: BEBC0180
	v_readlane_b32 s82, v3, 18                                 // 00000000A510: D2890052 00012503
	s_and_b32 s82, s82, 0xffffff                               // 00000000A518: 8652FF52 00FFFFFF
	s_cmp_lt_u32 s82, s66                                      // 00000000A520: BF0A4252
	s_cselect_b32 s20, s36, s60                                // 00000000A524: 85143C24
	v_readlane_b32 s82, v3, 19                                 // 00000000A528: D2890052 00012703
	s_and_b32 s82, s82, 0xffffff                               // 00000000A530: 8652FF52 00FFFFFF
	s_cmp_lt_u32 s82, s66                                      // 00000000A538: BF0A4252
	s_cselect_b32 s21, s36, s60                                // 00000000A53C: 85153C24
	s_mov_b64 exec, s[20:21]                                   // 00000000A540: BEFE0114
	global_atomic_add_f32 v6, v135, s[8:9] offset:8            // 00000000A544: DD348008 00088706
	global_atomic_add_f32 v6, v139, s[8:9] offset:264          // 00000000A54C: DD348108 00088B06
	s_mov_b64 exec, s[36:37]                                   // 00000000A554: BEFE0124
	s_branch label_1EDA                                        // 00000000A558: BF820000

000000000000a55c <label_1EDA>:
	s_waitcnt vmcnt(0) expcnt(0) lgkmcnt(0)                    // 00000000A55C: BF8C0000
	s_endpgm                                                   // 00000000A560: BF810000
